;; amdgpu-corpus repo=ROCm/rocFFT kind=compiled arch=gfx906 opt=O3
	.text
	.amdgcn_target "amdgcn-amd-amdhsa--gfx906"
	.amdhsa_code_object_version 6
	.protected	bluestein_single_back_len6561_dim1_sp_op_CI_CI ; -- Begin function bluestein_single_back_len6561_dim1_sp_op_CI_CI
	.globl	bluestein_single_back_len6561_dim1_sp_op_CI_CI
	.p2align	8
	.type	bluestein_single_back_len6561_dim1_sp_op_CI_CI,@function
bluestein_single_back_len6561_dim1_sp_op_CI_CI: ; @bluestein_single_back_len6561_dim1_sp_op_CI_CI
; %bb.0:
	s_load_dwordx4 s[12:15], s[4:5], 0x28
	s_mov_b64 s[26:27], s[2:3]
	v_mul_u32_u24_e32 v3, 0x10e, v0
	s_mov_b64 s[24:25], s[0:1]
	v_add_u32_sdwa v1, s6, v3 dst_sel:DWORD dst_unused:UNUSED_PAD src0_sel:DWORD src1_sel:WORD_1
	v_mov_b32_e32 v2, 0
	s_add_u32 s24, s24, s7
	s_waitcnt lgkmcnt(0)
	v_cmp_gt_u64_e32 vcc, s[12:13], v[1:2]
	s_addc_u32 s25, s25, 0
	s_and_saveexec_b64 s[0:1], vcc
	s_cbranch_execz .LBB0_2
; %bb.1:
	s_load_dwordx4 s[8:11], s[4:5], 0x0
	s_load_dwordx4 s[20:23], s[4:5], 0x18
	s_load_dwordx2 s[12:13], s[4:5], 0x38
	s_movk_i32 s16, 0xf3
	v_mul_lo_u16_sdwa v2, v3, s16 dst_sel:DWORD dst_unused:UNUSED_PAD src0_sel:WORD_1 src1_sel:DWORD
	v_sub_u16_e32 v105, v0, v2
	s_waitcnt lgkmcnt(0)
	s_load_dwordx4 s[0:3], s[22:23], 0x0
	v_lshlrev_b32_e32 v88, 3, v105
	v_add_u32_e32 v246, 0xf00, v88
                                        ; kill: killed $sgpr8_sgpr9
	v_add_u32_e32 v244, 0x9780, v88
	v_add_u32_e32 v38, 0xa700, v88
	s_waitcnt lgkmcnt(0)
	v_mad_u64_u32 v[4:5], s[4:5], s2, v1, 0
	v_mov_b32_e32 v46, v38
	v_mov_b32_e32 v107, v46
	;; [unrolled: 1-line block ×3, first 2 shown]
	v_mad_u64_u32 v[2:3], s[2:3], s3, v1, v[0:1]
	v_mov_b32_e32 v233, s11
	v_mov_b32_e32 v197, v107
	;; [unrolled: 1-line block ×3, first 2 shown]
	buffer_store_dword v4, off, s[24:27], 0 offset:176 ; 4-byte Folded Spill
	s_nop 0
	buffer_store_dword v5, off, s[24:27], 0 offset:180 ; 4-byte Folded Spill
	s_load_dwordx4 s[4:7], s[20:21], 0x0
	v_mov_b32_e32 v168, v105
	v_mov_b32_e32 v200, v168
	s_waitcnt lgkmcnt(0)
	v_mad_u64_u32 v[2:3], s[2:3], s6, v1, 0
	s_mul_hi_u32 s6, s4, 0x4458
	v_mov_b32_e32 v0, v3
	v_mad_u64_u32 v[0:1], s[2:3], s7, v1, v[0:1]
	s_mul_i32 s7, s4, 0x4458
	v_mov_b32_e32 v3, v0
	v_mad_u64_u32 v[0:1], s[2:3], s4, v105, 0
	v_mad_u64_u32 v[4:5], s[2:3], s5, v105, v[1:2]
	global_load_dwordx2 v[5:6], v88, s[8:9]
	v_lshlrev_b64 v[2:3], 3, v[2:3]
	v_mov_b32_e32 v1, v4
	v_add_co_u32_e32 v2, vcc, s14, v2
	v_mov_b32_e32 v4, s15
	v_lshlrev_b64 v[0:1], 3, v[0:1]
	v_addc_co_u32_e32 v3, vcc, v4, v3, vcc
	v_add_co_u32_e32 v0, vcc, v2, v0
	v_addc_co_u32_e32 v1, vcc, v3, v1, vcc
	global_load_dwordx2 v[2:3], v[0:1], off
	v_add_co_u32_e32 v20, vcc, s8, v88
	v_mov_b32_e32 v4, s9
	v_addc_co_u32_e32 v21, vcc, 0, v4, vcc
	s_mul_i32 s2, s5, 0x4458
	s_add_i32 s6, s6, s2
	v_add_co_u32_e32 v0, vcc, s7, v0
	s_movk_i32 s2, 0x4000
	s_mov_b32 s3, 0x8000
	s_waitcnt vmcnt(1)
	buffer_store_dword v5, off, s[24:27], 0 offset:216 ; 4-byte Folded Spill
	s_nop 0
	buffer_store_dword v6, off, s[24:27], 0 offset:220 ; 4-byte Folded Spill
	s_waitcnt vmcnt(2)
	v_mul_f32_e32 v4, v3, v6
	v_fmac_f32_e32 v4, v2, v5
	v_mul_f32_e32 v2, v2, v6
	v_fma_f32 v5, v3, v5, -v2
	v_mov_b32_e32 v2, s6
	v_addc_co_u32_e32 v1, vcc, v1, v2, vcc
	v_add_co_u32_e32 v6, vcc, s2, v20
	v_addc_co_u32_e32 v7, vcc, 0, v21, vcc
	global_load_dwordx2 v[9:10], v[6:7], off offset:1112
	global_load_dwordx2 v[2:3], v[0:1], off
                                        ; kill: killed $vgpr6 killed $vgpr7
	s_waitcnt vmcnt(1)
	buffer_store_dword v9, off, s[24:27], 0 offset:200 ; 4-byte Folded Spill
	s_nop 0
	buffer_store_dword v10, off, s[24:27], 0 offset:204 ; 4-byte Folded Spill
	s_waitcnt vmcnt(2)
	v_mul_f32_e32 v8, v3, v10
	v_fmac_f32_e32 v8, v2, v9
	v_mul_f32_e32 v2, v2, v10
	v_fma_f32 v9, v3, v9, -v2
	v_add_co_u32_e32 v2, vcc, s7, v0
	v_mov_b32_e32 v0, s6
	v_addc_co_u32_e32 v3, vcc, v1, v0, vcc
	v_add_co_u32_e32 v0, vcc, s3, v20
	v_addc_co_u32_e32 v1, vcc, 0, v21, vcc
	global_load_dwordx2 v[11:12], v[0:1], off offset:2224
	ds_write_b64 v88, v[8:9] offset:17496
	global_load_dwordx2 v[8:9], v[2:3], off
	s_mul_i32 s3, s5, 0xffff7ee8
	s_mul_hi_u32 s5, s4, 0xffff7ee8
	s_sub_i32 s5, s5, s4
	v_add_co_u32_e32 v223, vcc, s16, v105
	s_add_i32 s5, s5, s3
	s_mul_i32 s4, s4, 0xffff7ee8
	v_add_co_u32_e32 v2, vcc, s4, v2
	s_mov_b32 s3, 0x9000
                                        ; kill: killed $vgpr0 killed $vgpr1
	s_waitcnt vmcnt(1)
	buffer_store_dword v11, off, s[24:27], 0 offset:192 ; 4-byte Folded Spill
	s_nop 0
	buffer_store_dword v12, off, s[24:27], 0 offset:196 ; 4-byte Folded Spill
	s_waitcnt vmcnt(2)
	v_mul_f32_e32 v10, v9, v12
	v_fmac_f32_e32 v10, v8, v11
	v_mul_f32_e32 v8, v8, v12
	v_fma_f32 v11, v9, v11, -v8
	v_mov_b32_e32 v8, s5
	ds_write_b64 v88, v[10:11] offset:34992
	v_addc_co_u32_e32 v3, vcc, v3, v8, vcc
	global_load_dwordx2 v[8:9], v[2:3], off
	global_load_dwordx2 v[11:12], v88, s[8:9] offset:1944
	v_add_co_u32_e32 v2, vcc, s7, v2
	s_waitcnt vmcnt(0)
	buffer_store_dword v11, off, s[24:27], 0 offset:184 ; 4-byte Folded Spill
	s_nop 0
	buffer_store_dword v12, off, s[24:27], 0 offset:188 ; 4-byte Folded Spill
	v_mul_f32_e32 v10, v9, v12
	v_fmac_f32_e32 v10, v8, v11
	v_mul_f32_e32 v8, v8, v12
	v_fma_f32 v11, v9, v11, -v8
	ds_write2_b64 v88, v[4:5], v[10:11] offset1:243
	v_mov_b32_e32 v4, s6
	v_addc_co_u32_e32 v3, vcc, v3, v4, vcc
	global_load_dwordx2 v[4:5], v[2:3], off
	global_load_dwordx2 v[8:9], v[6:7], off offset:3056
	v_add_co_u32_e32 v2, vcc, s7, v2
	s_waitcnt vmcnt(0)
	buffer_store_dword v8, off, s[24:27], 0 offset:168 ; 4-byte Folded Spill
	s_nop 0
	buffer_store_dword v9, off, s[24:27], 0 offset:172 ; 4-byte Folded Spill
	v_mul_f32_e32 v6, v5, v9
	v_fmac_f32_e32 v6, v4, v8
	v_mul_f32_e32 v4, v4, v9
	v_fma_f32 v7, v5, v8, -v4
	v_mov_b32_e32 v4, s6
	v_addc_co_u32_e32 v3, vcc, v3, v4, vcc
	v_add_co_u32_e32 v8, vcc, s3, v20
	v_addc_co_u32_e32 v9, vcc, 0, v21, vcc
	global_load_dwordx2 v[11:12], v[8:9], off offset:72
	global_load_dwordx2 v[4:5], v[2:3], off
	s_movk_i32 s3, 0x1e6
	v_add_co_u32_e32 v225, vcc, s3, v105
	v_add_co_u32_e32 v2, vcc, s4, v2
	s_movk_i32 s3, 0x5000
                                        ; kill: killed $vgpr8 killed $vgpr9
	s_waitcnt vmcnt(1)
	buffer_store_dword v11, off, s[24:27], 0 offset:160 ; 4-byte Folded Spill
	s_nop 0
	buffer_store_dword v12, off, s[24:27], 0 offset:164 ; 4-byte Folded Spill
	s_waitcnt vmcnt(2)
	v_mul_f32_e32 v10, v5, v12
	v_fmac_f32_e32 v10, v4, v11
	v_mul_f32_e32 v4, v4, v12
	v_fma_f32 v11, v5, v11, -v4
	v_mov_b32_e32 v4, s5
	v_addc_co_u32_e32 v3, vcc, v3, v4, vcc
	global_load_dwordx2 v[4:5], v[2:3], off
	global_load_dwordx2 v[13:14], v88, s[8:9] offset:3888
	v_add_co_u32_e32 v2, vcc, s7, v2
	s_movk_i32 s8, 0x3cc
	s_waitcnt vmcnt(0)
	buffer_store_dword v13, off, s[24:27], 0 offset:152 ; 4-byte Folded Spill
	s_nop 0
	buffer_store_dword v14, off, s[24:27], 0 offset:156 ; 4-byte Folded Spill
	v_mul_f32_e32 v12, v5, v14
	v_fmac_f32_e32 v12, v4, v13
	v_mul_f32_e32 v4, v4, v14
	v_fma_f32 v13, v5, v13, -v4
	v_mov_b32_e32 v4, s6
	v_addc_co_u32_e32 v3, vcc, v3, v4, vcc
	v_add_co_u32_e32 v14, vcc, s3, v20
	v_addc_co_u32_e32 v15, vcc, 0, v21, vcc
	global_load_dwordx2 v[17:18], v[14:15], off offset:904
	global_load_dwordx2 v[4:5], v[2:3], off
	v_add_co_u32_e32 v2, vcc, s7, v2
	s_movk_i32 s3, 0x2d9
                                        ; kill: killed $vgpr14 killed $vgpr15
	s_waitcnt vmcnt(1)
	buffer_store_dword v17, off, s[24:27], 0 offset:144 ; 4-byte Folded Spill
	s_nop 0
	buffer_store_dword v18, off, s[24:27], 0 offset:148 ; 4-byte Folded Spill
	s_waitcnt vmcnt(2)
	v_mul_f32_e32 v16, v5, v18
	v_fmac_f32_e32 v16, v4, v17
	v_mul_f32_e32 v4, v4, v18
	v_fma_f32 v17, v5, v17, -v4
	v_add_u32_e32 v4, 0x4bc0, v88
	ds_write2_b64 v4, v[6:7], v[16:17] offset0:6 offset1:249
	v_mov_b32_e32 v242, v4
	v_mov_b32_e32 v4, s6
	v_addc_co_u32_e32 v3, vcc, v3, v4, vcc
	global_load_dwordx2 v[4:5], v[2:3], off
	global_load_dwordx2 v[16:17], v[8:9], off offset:2016
	v_add_co_u32_e32 v230, vcc, s3, v105
	v_add_co_u32_e32 v2, vcc, s4, v2
	s_movk_i32 s3, 0x1000
	s_waitcnt vmcnt(0)
	buffer_store_dword v16, off, s[24:27], 0 offset:128 ; 4-byte Folded Spill
	s_nop 0
	buffer_store_dword v17, off, s[24:27], 0 offset:132 ; 4-byte Folded Spill
	v_mul_f32_e32 v6, v5, v17
	v_fmac_f32_e32 v6, v4, v16
	v_mul_f32_e32 v4, v4, v17
	v_fma_f32 v7, v5, v16, -v4
	v_add_u32_e32 v4, 0x9000, v88
	ds_write2_b64 v4, v[10:11], v[6:7] offset0:9 offset1:252
	v_mov_b32_e32 v4, s5
	v_addc_co_u32_e32 v3, vcc, v3, v4, vcc
	v_add_co_u32_e32 v6, vcc, s3, v20
	v_addc_co_u32_e32 v7, vcc, 0, v21, vcc
	global_load_dwordx2 v[16:17], v[6:7], off offset:1736
	global_load_dwordx2 v[4:5], v[2:3], off
	v_add_co_u32_e32 v2, vcc, s7, v2
                                        ; kill: killed $vgpr6 killed $vgpr7
	s_waitcnt vmcnt(1)
	buffer_store_dword v16, off, s[24:27], 0 offset:120 ; 4-byte Folded Spill
	s_nop 0
	buffer_store_dword v17, off, s[24:27], 0 offset:124 ; 4-byte Folded Spill
	s_waitcnt vmcnt(2)
	v_mul_f32_e32 v10, v5, v17
	v_fmac_f32_e32 v10, v4, v16
	v_mul_f32_e32 v4, v4, v17
	v_fma_f32 v11, v5, v16, -v4
	v_mov_b32_e32 v4, s6
	ds_write2_b64 v246, v[12:13], v[10:11] offset0:6 offset1:249
	v_addc_co_u32_e32 v3, vcc, v3, v4, vcc
	global_load_dwordx2 v[4:5], v[2:3], off
	global_load_dwordx2 v[11:12], v[14:15], off offset:2848
	v_add_co_u32_e32 v2, vcc, s7, v2
	s_waitcnt vmcnt(0)
	buffer_store_dword v11, off, s[24:27], 0 offset:112 ; 4-byte Folded Spill
	s_nop 0
	buffer_store_dword v12, off, s[24:27], 0 offset:116 ; 4-byte Folded Spill
	v_mul_f32_e32 v10, v5, v12
	v_fmac_f32_e32 v10, v4, v11
	v_mul_f32_e32 v4, v4, v12
	v_fma_f32 v11, v5, v11, -v4
	v_mov_b32_e32 v4, s6
	v_addc_co_u32_e32 v3, vcc, v3, v4, vcc
	global_load_dwordx2 v[4:5], v[2:3], off
	global_load_dwordx2 v[12:13], v[8:9], off offset:3960
	v_add_co_u32_e32 v231, vcc, s8, v105
	v_add_co_u32_e32 v2, vcc, s4, v2
	s_movk_i32 s8, 0x6000
	s_waitcnt vmcnt(0)
	buffer_store_dword v12, off, s[24:27], 0 offset:96 ; 4-byte Folded Spill
	s_nop 0
	buffer_store_dword v13, off, s[24:27], 0 offset:100 ; 4-byte Folded Spill
	v_mul_f32_e32 v8, v5, v13
	v_fmac_f32_e32 v8, v4, v12
	v_mul_f32_e32 v4, v4, v13
	v_fma_f32 v9, v5, v12, -v4
	v_mov_b32_e32 v4, s5
	v_addc_co_u32_e32 v3, vcc, v3, v4, vcc
	global_load_dwordx2 v[4:5], v[2:3], off
	global_load_dwordx2 v[12:13], v[6:7], off offset:3680
	v_add_co_u32_e32 v2, vcc, s7, v2
	s_waitcnt vmcnt(0)
	buffer_store_dword v12, off, s[24:27], 0 offset:136 ; 4-byte Folded Spill
	s_nop 0
	buffer_store_dword v13, off, s[24:27], 0 offset:140 ; 4-byte Folded Spill
	v_mul_f32_e32 v6, v5, v13
	v_fmac_f32_e32 v6, v4, v12
	v_mul_f32_e32 v4, v4, v13
	v_fma_f32 v7, v5, v12, -v4
	v_mov_b32_e32 v4, s6
	v_addc_co_u32_e32 v3, vcc, v3, v4, vcc
	v_add_co_u32_e32 v12, vcc, s8, v20
	v_addc_co_u32_e32 v13, vcc, 0, v21, vcc
	global_load_dwordx2 v[15:16], v[12:13], off offset:696
	global_load_dwordx2 v[4:5], v[2:3], off
	v_add_co_u32_e32 v2, vcc, s7, v2
	s_mov_b32 s8, 0xa000
                                        ; kill: killed $vgpr12 killed $vgpr13
	s_waitcnt vmcnt(1)
	buffer_store_dword v15, off, s[24:27], 0 offset:104 ; 4-byte Folded Spill
	s_nop 0
	buffer_store_dword v16, off, s[24:27], 0 offset:108 ; 4-byte Folded Spill
	s_waitcnt vmcnt(2)
	v_mul_f32_e32 v14, v5, v16
	v_fmac_f32_e32 v14, v4, v15
	v_mul_f32_e32 v4, v4, v16
	v_fma_f32 v15, v5, v15, -v4
	v_add_u32_e32 v4, 0x5b00, v88
	ds_write2_b64 v4, v[10:11], v[14:15] offset0:4 offset1:247
	v_mov_b32_e32 v243, v4
	v_mov_b32_e32 v4, s6
	v_addc_co_u32_e32 v3, vcc, v3, v4, vcc
	v_add_co_u32_e32 v10, vcc, s8, v20
	v_addc_co_u32_e32 v11, vcc, 0, v21, vcc
	global_load_dwordx2 v[15:16], v[10:11], off offset:1808
	global_load_dwordx2 v[4:5], v[2:3], off
	s_movk_i32 s8, 0x4bf
	v_add_co_u32_e32 v229, vcc, s8, v105
	v_add_co_u32_e32 v2, vcc, s4, v2
	s_movk_i32 s8, 0x2000
                                        ; kill: killed $vgpr10 killed $vgpr11
	s_waitcnt vmcnt(1)
	buffer_store_dword v15, off, s[24:27], 0 offset:88 ; 4-byte Folded Spill
	s_nop 0
	buffer_store_dword v16, off, s[24:27], 0 offset:92 ; 4-byte Folded Spill
	s_waitcnt vmcnt(2)
	v_mul_f32_e32 v14, v5, v16
	v_fmac_f32_e32 v14, v4, v15
	v_mul_f32_e32 v4, v4, v16
	v_fma_f32 v15, v5, v15, -v4
	v_add_u32_e32 v4, 0x9f40, v88
	ds_write2_b64 v4, v[8:9], v[14:15] offset0:7 offset1:250
	v_mov_b32_e32 v4, s5
	v_addc_co_u32_e32 v3, vcc, v3, v4, vcc
	v_add_co_u32_e32 v8, vcc, s8, v20
	v_addc_co_u32_e32 v9, vcc, 0, v21, vcc
	global_load_dwordx2 v[15:16], v[8:9], off offset:1528
	global_load_dwordx2 v[4:5], v[2:3], off
	v_add_co_u32_e32 v2, vcc, s7, v2
	s_movk_i32 s8, 0x5b2
                                        ; kill: killed $vgpr8 killed $vgpr9
	s_waitcnt vmcnt(1)
	buffer_store_dword v15, off, s[24:27], 0 offset:80 ; 4-byte Folded Spill
	s_nop 0
	buffer_store_dword v16, off, s[24:27], 0 offset:84 ; 4-byte Folded Spill
	s_waitcnt vmcnt(2)
	v_mul_f32_e32 v14, v5, v16
	v_fmac_f32_e32 v14, v4, v15
	v_mul_f32_e32 v4, v4, v16
	v_fma_f32 v15, v5, v15, -v4
	v_add_u32_e32 v4, 0x1e00, v88
	ds_write2_b64 v4, v[6:7], v[14:15] offset0:12 offset1:255
	v_mov_b32_e32 v245, v4
	v_mov_b32_e32 v4, s6
	v_addc_co_u32_e32 v3, vcc, v3, v4, vcc
	global_load_dwordx2 v[4:5], v[2:3], off
	global_load_dwordx2 v[14:15], v[12:13], off offset:2640
	v_add_co_u32_e32 v2, vcc, s7, v2
	s_waitcnt vmcnt(0)
	buffer_store_dword v14, off, s[24:27], 0 offset:72 ; 4-byte Folded Spill
	s_nop 0
	buffer_store_dword v15, off, s[24:27], 0 offset:76 ; 4-byte Folded Spill
	v_mul_f32_e32 v6, v5, v15
	v_fmac_f32_e32 v6, v4, v14
	v_mul_f32_e32 v4, v4, v15
	v_fma_f32 v7, v5, v14, -v4
	v_mov_b32_e32 v4, s6
	v_addc_co_u32_e32 v3, vcc, v3, v4, vcc
	global_load_dwordx2 v[4:5], v[2:3], off
	global_load_dwordx2 v[12:13], v[10:11], off offset:3752
	s_waitcnt vmcnt(0)
	buffer_store_dword v12, off, s[24:27], 0 offset:56 ; 4-byte Folded Spill
	s_nop 0
	buffer_store_dword v13, off, s[24:27], 0 offset:60 ; 4-byte Folded Spill
	v_add_co_u32_e32 v45, vcc, s8, v105
	v_add_co_u32_e32 v2, vcc, s4, v2
	s_movk_i32 s8, 0x7000
	v_mul_f32_e32 v10, v5, v13
	v_fmac_f32_e32 v10, v4, v12
	v_mul_f32_e32 v4, v4, v13
	v_fma_f32 v11, v5, v12, -v4
	v_mov_b32_e32 v4, s5
	v_addc_co_u32_e32 v3, vcc, v3, v4, vcc
	global_load_dwordx2 v[4:5], v[2:3], off
	global_load_dwordx2 v[12:13], v[8:9], off offset:3472
	s_waitcnt vmcnt(0)
	buffer_store_dword v12, off, s[24:27], 0 offset:48 ; 4-byte Folded Spill
	s_nop 0
	buffer_store_dword v13, off, s[24:27], 0 offset:52 ; 4-byte Folded Spill
	v_add_co_u32_e32 v2, vcc, s7, v2
	v_mul_f32_e32 v8, v5, v13
	v_fmac_f32_e32 v8, v4, v12
	v_mul_f32_e32 v4, v4, v13
	v_fma_f32 v9, v5, v12, -v4
	v_mov_b32_e32 v4, s6
	v_addc_co_u32_e32 v3, vcc, v3, v4, vcc
	v_add_co_u32_e32 v12, vcc, s8, v20
	v_addc_co_u32_e32 v13, vcc, 0, v21, vcc
	global_load_dwordx2 v[15:16], v[12:13], off offset:488
	global_load_dwordx2 v[4:5], v[2:3], off
	s_waitcnt vmcnt(1)
	buffer_store_dword v15, off, s[24:27], 0 offset:40 ; 4-byte Folded Spill
	s_nop 0
	buffer_store_dword v16, off, s[24:27], 0 offset:44 ; 4-byte Folded Spill
	v_add_co_u32_e32 v2, vcc, s7, v2
	s_mov_b32 s8, 0xb000
                                        ; kill: killed $vgpr12 killed $vgpr13
	s_waitcnt vmcnt(2)
	v_mul_f32_e32 v14, v5, v16
	v_fmac_f32_e32 v14, v4, v15
	v_mul_f32_e32 v4, v4, v16
	v_fma_f32 v15, v5, v15, -v4
	v_add_u32_e32 v4, 0x6a00, v88
	ds_write2_b64 v4, v[6:7], v[14:15] offset0:10 offset1:253
	v_mov_b32_e32 v248, v4
	v_mov_b32_e32 v4, s6
	v_addc_co_u32_e32 v3, vcc, v3, v4, vcc
	v_add_co_u32_e32 v6, vcc, s8, v20
	v_addc_co_u32_e32 v7, vcc, 0, v21, vcc
	global_load_dwordx2 v[15:16], v[6:7], off offset:1600
	global_load_dwordx2 v[4:5], v[2:3], off
	s_waitcnt vmcnt(1)
	buffer_store_dword v15, off, s[24:27], 0 offset:32 ; 4-byte Folded Spill
	s_nop 0
	buffer_store_dword v16, off, s[24:27], 0 offset:36 ; 4-byte Folded Spill
	s_movk_i32 s8, 0x6a5
	v_add_co_u32_e32 v228, vcc, s8, v105
	v_add_co_u32_e32 v2, vcc, s4, v2
	s_movk_i32 s8, 0x3000
                                        ; kill: killed $vgpr6 killed $vgpr7
	s_waitcnt vmcnt(2)
	v_mul_f32_e32 v14, v5, v16
	v_fmac_f32_e32 v14, v4, v15
	v_mul_f32_e32 v4, v4, v16
	v_fma_f32 v15, v5, v15, -v4
	v_add_u32_e32 v4, 0xae80, v88
	ds_write2_b64 v4, v[10:11], v[14:15] offset0:5 offset1:248
	v_mov_b32_e32 v4, s5
	v_addc_co_u32_e32 v3, vcc, v3, v4, vcc
	v_add_co_u32_e32 v10, vcc, s8, v20
	v_addc_co_u32_e32 v11, vcc, 0, v21, vcc
	global_load_dwordx2 v[15:16], v[10:11], off offset:1320
	global_load_dwordx2 v[4:5], v[2:3], off
	s_waitcnt vmcnt(1)
	buffer_store_dword v15, off, s[24:27], 0 offset:24 ; 4-byte Folded Spill
	s_nop 0
	buffer_store_dword v16, off, s[24:27], 0 offset:28 ; 4-byte Folded Spill
	v_add_co_u32_e32 v2, vcc, s7, v2
	s_movk_i32 s8, 0x798
                                        ; kill: killed $vgpr10 killed $vgpr11
	s_waitcnt vmcnt(2)
	v_mul_f32_e32 v14, v5, v16
	v_fmac_f32_e32 v14, v4, v15
	v_mul_f32_e32 v4, v4, v16
	v_fma_f32 v15, v5, v15, -v4
	v_add_u32_e32 v4, 0x2d80, v88
	ds_write2_b64 v4, v[8:9], v[14:15] offset0:2 offset1:245
	v_mov_b32_e32 v42, v4
	v_mov_b32_e32 v4, s6
	v_addc_co_u32_e32 v3, vcc, v3, v4, vcc
	global_load_dwordx2 v[4:5], v[2:3], off
	global_load_dwordx2 v[14:15], v[12:13], off offset:2432
	s_waitcnt vmcnt(0)
	buffer_store_dword v14, off, s[24:27], 0 offset:16 ; 4-byte Folded Spill
	s_nop 0
	buffer_store_dword v15, off, s[24:27], 0 offset:20 ; 4-byte Folded Spill
	v_mov_b32_e32 v67, v42
	v_mov_b32_e32 v122, v67
	;; [unrolled: 1-line block ×4, first 2 shown]
	v_mul_f32_e32 v8, v5, v15
	v_fmac_f32_e32 v8, v4, v14
	v_mul_f32_e32 v4, v4, v15
	v_fma_f32 v9, v5, v14, -v4
	v_add_co_u32_e32 v4, vcc, s7, v2
	v_mov_b32_e32 v2, s6
	v_addc_co_u32_e32 v5, vcc, v3, v2, vcc
	global_load_dwordx2 v[12:13], v[4:5], off
	global_load_dwordx2 v[14:15], v[6:7], off offset:3544
	s_waitcnt vmcnt(0)
	buffer_store_dword v14, off, s[24:27], 0 offset:8 ; 4-byte Folded Spill
	s_nop 0
	buffer_store_dword v15, off, s[24:27], 0 offset:12 ; 4-byte Folded Spill
	v_add_co_u32_e32 v232, vcc, s8, v105
	v_add_co_u32_e32 v4, vcc, s4, v4
	v_mov_b32_e32 v6, s5
	v_addc_co_u32_e32 v5, vcc, v5, v6, vcc
	s_mov_b32 s4, 0xc000
	v_mul_f32_e32 v2, v13, v15
	v_mul_f32_e32 v3, v12, v15
	v_fmac_f32_e32 v2, v12, v14
	v_fma_f32 v3, v13, v14, -v3
	global_load_dwordx2 v[6:7], v[4:5], off
	global_load_dwordx2 v[12:13], v[10:11], off offset:3264
	s_waitcnt vmcnt(0)
	buffer_store_dword v12, off, s[24:27], 0 ; 4-byte Folded Spill
	s_nop 0
	buffer_store_dword v13, off, s[24:27], 0 offset:4 ; 4-byte Folded Spill
	v_add_co_u32_e32 v4, vcc, s7, v4
	v_mul_f32_e32 v10, v7, v13
	v_fmac_f32_e32 v10, v6, v12
	v_mul_f32_e32 v6, v6, v13
	v_fma_f32 v11, v7, v12, -v6
	v_mov_b32_e32 v6, s6
	ds_write_b64 v88, v[10:11] offset:15552
	v_addc_co_u32_e32 v5, vcc, v5, v6, vcc
	global_load_dwordx2 v[6:7], v[4:5], off
	global_load_dwordx2 v[10:11], v[0:1], off offset:280
	s_waitcnt vmcnt(0)
	buffer_store_dword v10, off, s[24:27], 0 offset:64 ; 4-byte Folded Spill
	s_nop 0
	buffer_store_dword v11, off, s[24:27], 0 offset:68 ; 4-byte Folded Spill
	v_add_u32_e32 v12, 0x8880, v88
	v_mov_b32_e32 v65, v12
	v_mov_b32_e32 v121, v65
	;; [unrolled: 1-line block ×3, first 2 shown]
	v_mul_f32_e32 v0, v7, v11
	v_mul_f32_e32 v1, v6, v11
	v_fmac_f32_e32 v0, v6, v10
	v_fma_f32 v1, v7, v10, -v1
	v_add_u32_e32 v6, 0x7980, v88
	ds_write2_b64 v6, v[8:9], v[0:1] offset1:243
	v_add_co_u32_e32 v0, vcc, s7, v4
	v_mov_b32_e32 v1, s6
	v_addc_co_u32_e32 v1, vcc, v5, v1, vcc
	v_add_co_u32_e32 v4, vcc, s4, v20
	v_addc_co_u32_e32 v5, vcc, 0, v21, vcc
	global_load_dwordx2 v[0:1], v[0:1], off
	s_nop 0
	buffer_store_dword v4, off, s[24:27], 0 offset:688 ; 4-byte Folded Spill
	s_nop 0
	buffer_store_dword v5, off, s[24:27], 0 offset:692 ; 4-byte Folded Spill
	v_mov_b32_e32 v250, v6
	v_add_u32_e32 v8, 0x3c80, v88
	v_mov_b32_e32 v247, v8
	s_movk_i32 s4, 0xab
	s_mul_hi_u32 s6, s0, 0xffff7ee8
	s_sub_i32 s6, s6, s0
	global_load_dwordx2 v[4:5], v[4:5], off offset:1392
	s_waitcnt vmcnt(0)
	v_mov_b32_e32 v6, v5
	v_mov_b32_e32 v5, v4
	buffer_store_dword v5, off, s[24:27], 0 offset:208 ; 4-byte Folded Spill
	s_nop 0
	buffer_store_dword v6, off, s[24:27], 0 offset:212 ; 4-byte Folded Spill
	v_mul_f32_e32 v4, v1, v6
	v_fmac_f32_e32 v4, v0, v5
	v_mul_f32_e32 v0, v0, v6
	v_fma_f32 v5, v1, v5, -v0
	v_add_u32_e32 v0, 0xbd80, v88
	ds_write2_b64 v0, v[2:3], v[4:5] offset0:11 offset1:254
	s_waitcnt vmcnt(0) lgkmcnt(0)
	s_barrier
	ds_read2_b64 v[0:3], v88 offset1:243
	ds_read2_b64 v[4:7], v8 offset0:8 offset1:251
	ds_read2_b64 v[8:11], v12 offset0:6 offset1:249
	ds_read2_b64 v[12:15], v242 offset0:6 offset1:249
	ds_read2_b64 v[16:19], v246 offset0:6 offset1:249
	ds_read2_b64 v[22:25], v244 offset0:12 offset1:255
	ds_read2_b64 v[26:29], v243 offset0:4 offset1:247
	ds_read2_b64 v[30:33], v245 offset0:12 offset1:255
	ds_read2_b64 v[34:37], v38 offset0:2 offset1:245
	s_waitcnt lgkmcnt(7)
	v_add_f32_e32 v44, v0, v6
	s_waitcnt lgkmcnt(6)
	v_add_f32_e32 v60, v44, v8
	v_add_f32_e32 v44, v6, v8
	v_fma_f32 v0, -0.5, v44, v0
	v_sub_f32_e32 v44, v7, v9
	v_mov_b32_e32 v62, v0
	v_fmac_f32_e32 v62, 0x3f5db3d7, v44
	v_fmac_f32_e32 v0, 0xbf5db3d7, v44
	v_add_f32_e32 v44, v1, v7
	v_add_f32_e32 v7, v7, v9
	v_fma_f32 v1, -0.5, v7, v1
	v_sub_f32_e32 v6, v6, v8
	v_mov_b32_e32 v63, v1
	s_waitcnt lgkmcnt(5)
	v_add_f32_e32 v7, v12, v10
	v_fmac_f32_e32 v63, 0xbf5db3d7, v6
	v_fmac_f32_e32 v1, 0x3f5db3d7, v6
	v_add_f32_e32 v6, v2, v12
	v_fma_f32 v2, -0.5, v7, v2
	v_sub_f32_e32 v7, v13, v11
	v_mov_b32_e32 v8, v2
	v_add_f32_e32 v61, v44, v9
	v_fmac_f32_e32 v8, 0x3f5db3d7, v7
	v_fmac_f32_e32 v2, 0xbf5db3d7, v7
	v_add_f32_e32 v7, v3, v13
	v_add_f32_e32 v9, v13, v11
	;; [unrolled: 1-line block ×3, first 2 shown]
	v_fmac_f32_e32 v3, -0.5, v9
	s_waitcnt lgkmcnt(3)
	v_add_f32_e32 v11, v14, v22
	v_add_f32_e32 v6, v6, v10
	v_sub_f32_e32 v10, v12, v10
	v_mov_b32_e32 v9, v3
	v_fma_f32 v12, -0.5, v11, v16
	v_add_f32_e32 v13, v15, v23
	v_fmac_f32_e32 v9, 0xbf5db3d7, v10
	v_fmac_f32_e32 v3, 0x3f5db3d7, v10
	v_add_f32_e32 v10, v16, v14
	v_sub_f32_e32 v11, v15, v23
	v_mov_b32_e32 v16, v12
	v_fma_f32 v13, -0.5, v13, v17
	v_fmac_f32_e32 v16, 0x3f5db3d7, v11
	v_fmac_f32_e32 v12, 0xbf5db3d7, v11
	v_add_f32_e32 v11, v17, v15
	v_sub_f32_e32 v14, v14, v22
	v_mov_b32_e32 v17, v13
	s_waitcnt lgkmcnt(2)
	v_add_f32_e32 v15, v26, v24
	v_fmac_f32_e32 v17, 0xbf5db3d7, v14
	v_fmac_f32_e32 v13, 0x3f5db3d7, v14
	v_add_f32_e32 v14, v18, v26
	v_fma_f32 v18, -0.5, v15, v18
	ds_read2_b64 v[38:41], v248 offset0:10 offset1:253
	v_add_f32_e32 v10, v10, v22
	v_sub_f32_e32 v15, v27, v25
	v_mov_b32_e32 v22, v18
	v_add_f32_e32 v11, v11, v23
	v_fmac_f32_e32 v22, 0x3f5db3d7, v15
	v_fmac_f32_e32 v18, 0xbf5db3d7, v15
	v_add_f32_e32 v15, v19, v27
	v_add_f32_e32 v23, v27, v25
	;; [unrolled: 1-line block ×3, first 2 shown]
	v_fmac_f32_e32 v19, -0.5, v23
	s_waitcnt lgkmcnt(1)
	v_add_f32_e32 v25, v28, v34
	ds_read2_b64 v[48:51], v42 offset0:2 offset1:245
	v_add_u32_e32 v42, 0xb600, v88
	v_add_f32_e32 v14, v14, v24
	v_sub_f32_e32 v24, v26, v24
	v_mov_b32_e32 v23, v19
	v_fma_f32 v26, -0.5, v25, v30
	v_add_f32_e32 v27, v29, v35
	ds_read2_b64 v[52:55], v42 offset0:8 offset1:251
	v_fmac_f32_e32 v23, 0xbf5db3d7, v24
	v_fmac_f32_e32 v19, 0x3f5db3d7, v24
	v_add_f32_e32 v24, v30, v28
	v_sub_f32_e32 v25, v29, v35
	v_mov_b32_e32 v30, v26
	v_fma_f32 v27, -0.5, v27, v31
	v_fmac_f32_e32 v30, 0x3f5db3d7, v25
	v_fmac_f32_e32 v26, 0xbf5db3d7, v25
	v_add_f32_e32 v25, v31, v29
	v_sub_f32_e32 v28, v28, v34
	v_mov_b32_e32 v31, v27
	s_waitcnt lgkmcnt(2)
	v_add_f32_e32 v29, v38, v36
	v_fmac_f32_e32 v31, 0xbf5db3d7, v28
	v_fmac_f32_e32 v27, 0x3f5db3d7, v28
	v_add_f32_e32 v28, v32, v38
	v_fma_f32 v32, -0.5, v29, v32
	v_add_f32_e32 v24, v24, v34
	v_sub_f32_e32 v29, v39, v37
	v_mov_b32_e32 v34, v32
	v_mov_b32_e32 v66, v42
	ds_read2_b64 v[56:59], v250 offset1:243
	ds_read_b64 v[42:43], v88 offset:50544
	v_add_f32_e32 v25, v25, v35
	v_fmac_f32_e32 v34, 0x3f5db3d7, v29
	v_fmac_f32_e32 v32, 0xbf5db3d7, v29
	v_add_f32_e32 v29, v33, v39
	v_add_f32_e32 v35, v39, v37
	;; [unrolled: 1-line block ×3, first 2 shown]
	v_fmac_f32_e32 v33, -0.5, v35
	s_waitcnt lgkmcnt(2)
	v_add_f32_e32 v37, v40, v52
	v_add_f32_e32 v28, v28, v36
	v_sub_f32_e32 v36, v38, v36
	v_mov_b32_e32 v35, v33
	v_fma_f32 v38, -0.5, v37, v48
	v_add_f32_e32 v39, v41, v53
	v_fmac_f32_e32 v35, 0xbf5db3d7, v36
	v_fmac_f32_e32 v33, 0x3f5db3d7, v36
	v_add_f32_e32 v36, v48, v40
	v_sub_f32_e32 v37, v41, v53
	v_mov_b32_e32 v48, v38
	v_fma_f32 v39, -0.5, v39, v49
	v_fmac_f32_e32 v48, 0x3f5db3d7, v37
	v_fmac_f32_e32 v38, 0xbf5db3d7, v37
	v_add_f32_e32 v37, v49, v41
	v_sub_f32_e32 v40, v40, v52
	v_mov_b32_e32 v49, v39
	s_waitcnt lgkmcnt(1)
	v_add_f32_e32 v41, v56, v54
	v_fmac_f32_e32 v49, 0xbf5db3d7, v40
	v_fmac_f32_e32 v39, 0x3f5db3d7, v40
	v_add_f32_e32 v40, v50, v56
	v_fma_f32 v50, -0.5, v41, v50
	v_add_f32_e32 v36, v36, v52
	v_sub_f32_e32 v41, v57, v55
	v_mov_b32_e32 v52, v50
	v_add_f32_e32 v44, v57, v55
	v_fmac_f32_e32 v52, 0x3f5db3d7, v41
	v_fmac_f32_e32 v50, 0xbf5db3d7, v41
	v_add_f32_e32 v41, v51, v57
	v_fmac_f32_e32 v51, -0.5, v44
	v_add_f32_e32 v37, v37, v53
	v_sub_f32_e32 v44, v56, v54
	v_mov_b32_e32 v53, v51
	v_fmac_f32_e32 v53, 0xbf5db3d7, v44
	v_fmac_f32_e32 v51, 0x3f5db3d7, v44
	v_add_f32_e32 v44, v4, v58
	v_add_f32_e32 v40, v40, v54
	s_waitcnt lgkmcnt(0)
	v_add_f32_e32 v54, v44, v42
	v_add_f32_e32 v44, v58, v42
	v_fma_f32 v4, -0.5, v44, v4
	v_sub_f32_e32 v44, v59, v43
	v_mov_b32_e32 v56, v4
	v_fmac_f32_e32 v56, 0x3f5db3d7, v44
	v_fmac_f32_e32 v4, 0xbf5db3d7, v44
	v_add_f32_e32 v44, v5, v59
	v_add_f32_e32 v41, v41, v55
	v_add_f32_e32 v55, v44, v43
	v_add_f32_e32 v43, v59, v43
	v_fmac_f32_e32 v5, -0.5, v43
	v_sub_f32_e32 v42, v58, v42
	v_mov_b32_e32 v57, v5
	v_fmac_f32_e32 v57, 0xbf5db3d7, v42
	v_fmac_f32_e32 v5, 0x3f5db3d7, v42
	v_mul_lo_u16_e32 v42, 3, v105
	v_lshlrev_b32_e32 v42, 3, v42
	s_barrier
	buffer_store_dword v42, off, s[24:27], 0 offset:628 ; 4-byte Folded Spill
	ds_write2_b64 v42, v[60:61], v[62:63] offset1:1
	ds_write_b64 v42, v[0:1] offset:16
	v_mul_u32_u24_e32 v0, 3, v223
	v_lshlrev_b32_e32 v0, 3, v0
	buffer_store_dword v0, off, s[24:27], 0 offset:624 ; 4-byte Folded Spill
	ds_write2_b64 v0, v[6:7], v[8:9] offset1:1
	ds_write_b64 v0, v[2:3] offset:16
	v_mul_u32_u24_e32 v0, 3, v225
	v_lshlrev_b32_e32 v0, 3, v0
	buffer_store_dword v0, off, s[24:27], 0 offset:620 ; 4-byte Folded Spill
	ds_write2_b64 v0, v[10:11], v[16:17] offset1:1
	ds_write_b64 v0, v[12:13] offset:16
	v_mul_u32_u24_e32 v0, 3, v230
	v_lshlrev_b32_e32 v0, 3, v0
	buffer_store_dword v0, off, s[24:27], 0 offset:616 ; 4-byte Folded Spill
	ds_write2_b64 v0, v[14:15], v[22:23] offset1:1
	ds_write_b64 v0, v[18:19] offset:16
	v_mul_u32_u24_e32 v0, 3, v231
	v_lshlrev_b32_e32 v0, 3, v0
	buffer_store_dword v0, off, s[24:27], 0 offset:612 ; 4-byte Folded Spill
	ds_write2_b64 v0, v[24:25], v[30:31] offset1:1
	ds_write_b64 v0, v[26:27] offset:16
	v_mul_u32_u24_e32 v0, 3, v229
	v_lshlrev_b32_e32 v0, 3, v0
	buffer_store_dword v0, off, s[24:27], 0 offset:608 ; 4-byte Folded Spill
	ds_write2_b64 v0, v[28:29], v[34:35] offset1:1
	ds_write_b64 v0, v[32:33] offset:16
	v_mul_u32_u24_e32 v0, 3, v45
	v_mul_lo_u16_sdwa v24, v105, s4 dst_sel:DWORD dst_unused:UNUSED_PAD src0_sel:BYTE_0 src1_sel:DWORD
	v_lshlrev_b32_e32 v0, 3, v0
	v_lshrrev_b16_e32 v24, 9, v24
	buffer_store_dword v0, off, s[24:27], 0 offset:600 ; 4-byte Folded Spill
	ds_write2_b64 v0, v[36:37], v[48:49] offset1:1
	ds_write_b64 v0, v[38:39] offset:16
	v_mul_u32_u24_e32 v0, 3, v228
	v_mul_lo_u16_e32 v25, 3, v24
	v_lshlrev_b32_e32 v0, 3, v0
	v_sub_u16_e32 v25, v105, v25
	buffer_store_dword v0, off, s[24:27], 0 offset:592 ; 4-byte Folded Spill
	ds_write2_b64 v0, v[40:41], v[52:53] offset1:1
	ds_write_b64 v0, v[50:51] offset:16
	v_mul_u32_u24_e32 v0, 3, v232
	v_and_b32_e32 v25, 0xff, v25
	v_lshlrev_b32_e32 v0, 3, v0
	v_lshlrev_b32_e32 v42, 4, v25
	buffer_store_dword v0, off, s[24:27], 0 offset:584 ; 4-byte Folded Spill
	ds_write2_b64 v0, v[54:55], v[56:57] offset1:1
	ds_write_b64 v0, v[4:5] offset:16
	s_waitcnt vmcnt(0) lgkmcnt(0)
	s_barrier
	ds_read2_b64 v[16:19], v88 offset1:243
	ds_read2_b64 v[0:3], v247 offset0:8 offset1:251
	ds_read2_b64 v[26:29], v65 offset0:6 offset1:249
	;; [unrolled: 1-line block ×11, first 2 shown]
	ds_read2_b64 v[60:63], v250 offset1:243
	ds_read_b64 v[22:23], v88 offset:50544
	global_load_dwordx4 v[108:111], v42, s[10:11]
	s_mov_b32 s4, 0xaaab
	v_mov_b32_e32 v106, v66
	v_mul_u32_u24_e32 v24, 9, v24
	v_add_lshl_u32 v24, v24, v25, 3
	v_mov_b32_e32 v196, v106
	s_waitcnt vmcnt(0) lgkmcnt(12)
	v_mul_f32_e32 v42, v3, v109
	v_fma_f32 v42, v2, v108, -v42
	v_mul_f32_e32 v43, v2, v109
	s_waitcnt lgkmcnt(11)
	v_mul_f32_e32 v2, v27, v111
	v_fma_f32 v44, v26, v110, -v2
	v_mul_u32_u24_sdwa v2, v223, s4 dst_sel:DWORD dst_unused:UNUSED_PAD src0_sel:WORD_0 src1_sel:DWORD
	v_lshrrev_b32_e32 v2, 17, v2
	v_fmac_f32_e32 v43, v3, v108
	v_mul_lo_u16_e32 v3, 3, v2
	v_sub_u16_e32 v3, v223, v3
	v_mul_f32_e32 v46, v26, v111
	v_lshlrev_b16_e32 v26, 1, v3
	v_lshlrev_b32_e32 v26, 3, v26
	global_load_dwordx4 v[112:115], v26, s[10:11]
	v_fmac_f32_e32 v46, v27, v110
	v_mad_legacy_u16 v2, v2, 9, v3
	v_lshlrev_b32_e32 v2, 3, v2
	s_waitcnt vmcnt(0) lgkmcnt(10)
	v_mul_f32_e32 v26, v31, v113
	v_fma_f32 v47, v30, v112, -v26
	v_mul_f32_e32 v26, v29, v115
	v_fma_f32 v65, v28, v114, -v26
	v_mul_u32_u24_sdwa v26, v225, s4 dst_sel:DWORD dst_unused:UNUSED_PAD src0_sel:WORD_0 src1_sel:DWORD
	v_lshrrev_b32_e32 v26, 17, v26
	v_mul_lo_u16_e32 v27, 3, v26
	v_sub_u16_e32 v27, v225, v27
	v_mul_f32_e32 v66, v28, v115
	v_lshlrev_b16_e32 v28, 1, v27
	v_lshlrev_b32_e32 v28, 3, v28
	global_load_dwordx4 v[124:127], v28, s[10:11]
	v_fmac_f32_e32 v66, v29, v114
	v_mul_f32_e32 v64, v30, v113
	v_fmac_f32_e32 v64, v31, v112
	s_waitcnt vmcnt(0)
	v_mul_f32_e32 v28, v33, v125
	v_fma_f32 v67, v32, v124, -v28
	s_waitcnt lgkmcnt(8)
	v_mul_f32_e32 v28, v35, v127
	v_fma_f32 v69, v34, v126, -v28
	v_mul_u32_u24_sdwa v28, v230, s4 dst_sel:DWORD dst_unused:UNUSED_PAD src0_sel:WORD_0 src1_sel:DWORD
	v_lshrrev_b32_e32 v28, 17, v28
	v_mul_lo_u16_e32 v29, 3, v28
	v_sub_u16_e32 v29, v230, v29
	v_lshlrev_b16_e32 v30, 1, v29
	v_lshlrev_b32_e32 v30, 3, v30
	global_load_dwordx4 v[128:131], v30, s[10:11]
	v_mul_f32_e32 v68, v32, v125
	v_add_f32_e32 v32, v43, v46
	v_fmac_f32_e32 v68, v33, v124
	v_mul_f32_e32 v70, v34, v127
	v_sub_f32_e32 v33, v42, v44
	v_add_f32_e32 v34, v47, v65
	v_fmac_f32_e32 v70, v35, v126
	s_waitcnt vmcnt(0) lgkmcnt(7)
	v_mul_f32_e32 v30, v39, v129
	v_fma_f32 v71, v38, v128, -v30
	v_mul_f32_e32 v30, v37, v131
	v_fma_f32 v73, v36, v130, -v30
	v_mul_u32_u24_sdwa v30, v231, s4 dst_sel:DWORD dst_unused:UNUSED_PAD src0_sel:WORD_0 src1_sel:DWORD
	v_lshrrev_b32_e32 v30, 17, v30
	v_mul_lo_u16_e32 v31, 3, v30
	v_sub_u16_e32 v75, v231, v31
	v_lshlrev_b16_e32 v31, 1, v75
	v_lshlrev_b32_e32 v31, 3, v31
	global_load_dwordx4 v[132:135], v31, s[10:11]
	v_mul_f32_e32 v74, v36, v131
	v_add_f32_e32 v36, v64, v66
	v_mul_f32_e32 v72, v38, v129
	v_fmac_f32_e32 v74, v37, v130
	v_sub_f32_e32 v37, v47, v65
	v_add_f32_e32 v38, v67, v69
	v_fmac_f32_e32 v72, v39, v128
	s_waitcnt vmcnt(0)
	v_mul_f32_e32 v31, v41, v133
	v_fma_f32 v76, v40, v132, -v31
	s_waitcnt lgkmcnt(5)
	v_mul_f32_e32 v31, v49, v135
	v_fma_f32 v78, v48, v134, -v31
	v_mul_u32_u24_sdwa v31, v229, s4 dst_sel:DWORD dst_unused:UNUSED_PAD src0_sel:WORD_0 src1_sel:DWORD
	v_lshrrev_b32_e32 v80, 17, v31
	v_mul_lo_u16_e32 v31, 3, v80
	v_sub_u16_e32 v81, v229, v31
	v_lshlrev_b16_e32 v31, 1, v81
	v_lshlrev_b32_e32 v31, 3, v31
	global_load_dwordx4 v[136:139], v31, s[10:11]
	v_mul_f32_e32 v77, v40, v133
	v_add_f32_e32 v40, v68, v70
	v_fmac_f32_e32 v77, v41, v132
	v_sub_f32_e32 v41, v67, v69
	v_mul_f32_e32 v79, v48, v135
	v_fmac_f32_e32 v79, v49, v134
	s_waitcnt vmcnt(0) lgkmcnt(4)
	v_mul_f32_e32 v31, v53, v137
	v_fma_f32 v82, v52, v136, -v31
	v_mul_f32_e32 v31, v51, v139
	v_fma_f32 v84, v50, v138, -v31
	v_mul_u32_u24_sdwa v31, v45, s4 dst_sel:DWORD dst_unused:UNUSED_PAD src0_sel:WORD_0 src1_sel:DWORD
	v_lshrrev_b32_e32 v86, 17, v31
	v_mul_lo_u16_e32 v31, 3, v86
	v_sub_u16_e32 v87, v45, v31
	v_lshlrev_b16_e32 v31, 1, v87
	v_lshlrev_b32_e32 v31, 3, v31
	global_load_dwordx4 v[144:147], v31, s[10:11]
	v_mul_f32_e32 v85, v50, v139
	v_mul_f32_e32 v83, v52, v137
	v_fmac_f32_e32 v85, v51, v138
	v_fmac_f32_e32 v83, v53, v136
	s_waitcnt vmcnt(0)
	v_mul_f32_e32 v31, v55, v145
	v_fma_f32 v89, v54, v144, -v31
	s_waitcnt lgkmcnt(2)
	v_mul_f32_e32 v31, v57, v147
	v_fma_f32 v91, v56, v146, -v31
	v_mul_u32_u24_sdwa v31, v228, s4 dst_sel:DWORD dst_unused:UNUSED_PAD src0_sel:WORD_0 src1_sel:DWORD
	v_lshrrev_b32_e32 v93, 17, v31
	v_mul_lo_u16_e32 v31, 3, v93
	v_sub_u16_e32 v94, v228, v31
	v_lshlrev_b16_e32 v31, 1, v94
	v_lshlrev_b32_e32 v31, 3, v31
	global_load_dwordx4 v[148:151], v31, s[10:11]
	v_mul_f32_e32 v90, v54, v145
	v_mul_f32_e32 v92, v56, v147
	v_fmac_f32_e32 v90, v55, v144
	v_fmac_f32_e32 v92, v57, v146
	s_waitcnt vmcnt(0) lgkmcnt(1)
	v_mul_f32_e32 v31, v61, v149
	v_fma_f32 v95, v60, v148, -v31
	v_mul_f32_e32 v31, v59, v151
	v_fma_f32 v97, v58, v150, -v31
	v_mul_u32_u24_sdwa v31, v232, s4 dst_sel:DWORD dst_unused:UNUSED_PAD src0_sel:WORD_0 src1_sel:DWORD
	v_lshrrev_b32_e32 v99, 17, v31
	v_mul_lo_u16_e32 v31, 3, v99
	v_sub_u16_e32 v100, v232, v31
	v_lshlrev_b16_e32 v31, 1, v100
	v_lshlrev_b32_e32 v31, 3, v31
	global_load_dwordx4 v[116:119], v31, s[10:11]
	v_mul_f32_e32 v98, v58, v151
	v_mul_f32_e32 v96, v60, v149
	v_fmac_f32_e32 v98, v59, v150
	v_fmac_f32_e32 v96, v61, v148
	s_waitcnt vmcnt(0) lgkmcnt(0)
	s_barrier
	buffer_store_dword v24, off, s[24:27], 0 offset:504 ; 4-byte Folded Spill
	s_mov_b32 s4, 0xe38f
	v_mul_f32_e32 v31, v63, v117
	v_mul_f32_e32 v104, v22, v119
	v_fma_f32 v101, v62, v116, -v31
	v_mul_f32_e32 v31, v23, v119
	v_fmac_f32_e32 v104, v23, v118
	v_add_f32_e32 v23, v42, v44
	v_fma_f32 v103, v22, v118, -v31
	v_add_f32_e32 v22, v16, v42
	v_fma_f32 v16, -0.5, v23, v16
	v_sub_f32_e32 v23, v43, v46
	v_mov_b32_e32 v31, v16
	v_fmac_f32_e32 v31, 0x3f5db3d7, v23
	v_fmac_f32_e32 v16, 0xbf5db3d7, v23
	v_add_f32_e32 v23, v17, v43
	v_fma_f32 v17, -0.5, v32, v17
	v_mov_b32_e32 v32, v17
	v_fmac_f32_e32 v32, 0xbf5db3d7, v33
	v_fmac_f32_e32 v17, 0x3f5db3d7, v33
	v_add_f32_e32 v33, v18, v47
	v_fma_f32 v18, -0.5, v34, v18
	v_sub_f32_e32 v34, v64, v66
	v_mov_b32_e32 v35, v18
	v_fmac_f32_e32 v35, 0x3f5db3d7, v34
	v_fmac_f32_e32 v18, 0xbf5db3d7, v34
	v_add_f32_e32 v34, v19, v64
	v_fmac_f32_e32 v19, -0.5, v36
	v_mov_b32_e32 v36, v19
	v_fmac_f32_e32 v36, 0xbf5db3d7, v37
	v_fmac_f32_e32 v19, 0x3f5db3d7, v37
	v_add_f32_e32 v37, v12, v67
	v_fma_f32 v12, -0.5, v38, v12
	v_sub_f32_e32 v38, v68, v70
	v_mov_b32_e32 v39, v12
	v_fmac_f32_e32 v39, 0x3f5db3d7, v38
	v_fmac_f32_e32 v12, 0xbf5db3d7, v38
	v_add_f32_e32 v38, v13, v68
	v_fma_f32 v13, -0.5, v40, v13
	v_mov_b32_e32 v40, v13
	v_add_f32_e32 v42, v71, v73
	v_fmac_f32_e32 v40, 0xbf5db3d7, v41
	v_fmac_f32_e32 v13, 0x3f5db3d7, v41
	v_add_f32_e32 v41, v14, v71
	v_fma_f32 v14, -0.5, v42, v14
	v_sub_f32_e32 v42, v72, v74
	v_mov_b32_e32 v48, v14
	v_add_f32_e32 v43, v72, v74
	v_fmac_f32_e32 v48, 0x3f5db3d7, v42
	v_fmac_f32_e32 v14, 0xbf5db3d7, v42
	v_add_f32_e32 v42, v15, v72
	v_fmac_f32_e32 v15, -0.5, v43
	v_sub_f32_e32 v43, v71, v73
	v_mov_b32_e32 v49, v15
	v_fmac_f32_e32 v49, 0xbf5db3d7, v43
	v_fmac_f32_e32 v15, 0x3f5db3d7, v43
	v_add_f32_e32 v43, v8, v76
	v_add_f32_e32 v50, v43, v78
	v_add_f32_e32 v43, v76, v78
	v_fma_f32 v8, -0.5, v43, v8
	v_sub_f32_e32 v43, v77, v79
	v_mov_b32_e32 v52, v8
	v_fmac_f32_e32 v52, 0x3f5db3d7, v43
	v_fmac_f32_e32 v8, 0xbf5db3d7, v43
	v_add_f32_e32 v43, v9, v77
	v_add_f32_e32 v51, v43, v79
	v_add_f32_e32 v43, v77, v79
	v_fma_f32 v9, -0.5, v43, v9
	;; [unrolled: 8-line block ×3, first 2 shown]
	v_sub_f32_e32 v43, v83, v85
	v_mov_b32_e32 v56, v10
	v_fmac_f32_e32 v56, 0x3f5db3d7, v43
	v_fmac_f32_e32 v10, 0xbf5db3d7, v43
	v_add_f32_e32 v43, v11, v83
	v_add_f32_e32 v55, v43, v85
	;; [unrolled: 1-line block ×3, first 2 shown]
	v_fmac_f32_e32 v11, -0.5, v43
	v_sub_f32_e32 v43, v82, v84
	v_mov_b32_e32 v57, v11
	v_fmac_f32_e32 v57, 0xbf5db3d7, v43
	v_fmac_f32_e32 v11, 0x3f5db3d7, v43
	v_add_f32_e32 v43, v4, v89
	v_add_f32_e32 v58, v43, v91
	;; [unrolled: 1-line block ×3, first 2 shown]
	v_fma_f32 v4, -0.5, v43, v4
	v_sub_f32_e32 v43, v90, v92
	v_mov_b32_e32 v60, v4
	v_fmac_f32_e32 v60, 0x3f5db3d7, v43
	v_fmac_f32_e32 v4, 0xbf5db3d7, v43
	v_add_f32_e32 v43, v5, v90
	v_add_f32_e32 v59, v43, v92
	;; [unrolled: 1-line block ×3, first 2 shown]
	v_fma_f32 v5, -0.5, v43, v5
	v_sub_f32_e32 v43, v89, v91
	v_mov_b32_e32 v61, v5
	v_fmac_f32_e32 v61, 0xbf5db3d7, v43
	v_fmac_f32_e32 v5, 0x3f5db3d7, v43
	v_add_f32_e32 v43, v6, v95
	v_mul_f32_e32 v102, v62, v117
	v_add_f32_e32 v22, v22, v44
	v_add_f32_e32 v23, v23, v46
	;; [unrolled: 1-line block ×6, first 2 shown]
	v_fma_f32 v6, -0.5, v43, v6
	ds_write2_b64 v24, v[22:23], v[31:32] offset1:3
	ds_write_b64 v24, v[16:17] offset:48
	buffer_store_dword v2, off, s[24:27], 0 offset:488 ; 4-byte Folded Spill
	ds_write2_b64 v2, v[33:34], v[35:36] offset1:3
	ds_write_b64 v2, v[18:19] offset:48
	v_mad_legacy_u16 v2, v26, 9, v27
	v_add_f32_e32 v37, v37, v69
	v_add_f32_e32 v38, v38, v70
	v_sub_f32_e32 v43, v96, v98
	v_mov_b32_e32 v64, v6
	v_lshlrev_b32_e32 v2, 3, v2
	v_fmac_f32_e32 v64, 0x3f5db3d7, v43
	v_fmac_f32_e32 v6, 0xbf5db3d7, v43
	v_add_f32_e32 v43, v7, v96
	buffer_store_dword v2, off, s[24:27], 0 offset:432 ; 4-byte Folded Spill
	ds_write2_b64 v2, v[37:38], v[39:40] offset1:3
	ds_write_b64 v2, v[12:13] offset:48
	v_mad_legacy_u16 v2, v28, 9, v29
	v_fmac_f32_e32 v102, v63, v116
	v_add_f32_e32 v41, v41, v73
	v_add_f32_e32 v42, v42, v74
	;; [unrolled: 1-line block ×4, first 2 shown]
	v_lshlrev_b32_e32 v2, 3, v2
	v_fmac_f32_e32 v7, -0.5, v43
	buffer_store_dword v2, off, s[24:27], 0 offset:392 ; 4-byte Folded Spill
	ds_write2_b64 v2, v[41:42], v[48:49] offset1:3
	ds_write_b64 v2, v[14:15] offset:48
	v_mad_legacy_u16 v2, v30, 9, v75
	v_sub_f32_e32 v43, v95, v97
	v_mov_b32_e32 v65, v7
	v_lshlrev_b32_e32 v2, 3, v2
	v_fmac_f32_e32 v65, 0xbf5db3d7, v43
	v_fmac_f32_e32 v7, 0x3f5db3d7, v43
	v_add_f32_e32 v43, v0, v101
	buffer_store_dword v2, off, s[24:27], 0 offset:348 ; 4-byte Folded Spill
	ds_write2_b64 v2, v[50:51], v[52:53] offset1:3
	ds_write_b64 v2, v[8:9] offset:48
	v_mad_legacy_u16 v2, v80, 9, v81
	v_add_f32_e32 v66, v43, v103
	v_add_f32_e32 v43, v101, v103
	v_lshlrev_b32_e32 v2, 3, v2
	v_fma_f32 v0, -0.5, v43, v0
	buffer_store_dword v2, off, s[24:27], 0 offset:308 ; 4-byte Folded Spill
	ds_write2_b64 v2, v[54:55], v[56:57] offset1:3
	ds_write_b64 v2, v[10:11] offset:48
	v_mov_b32_e32 v10, 57
	v_sub_f32_e32 v43, v102, v104
	v_mov_b32_e32 v68, v0
	v_mad_legacy_u16 v2, v86, 9, v87
	v_mul_lo_u16_sdwa v10, v105, v10 dst_sel:DWORD dst_unused:UNUSED_PAD src0_sel:BYTE_0 src1_sel:DWORD
	v_fmac_f32_e32 v68, 0x3f5db3d7, v43
	v_fmac_f32_e32 v0, 0xbf5db3d7, v43
	v_add_f32_e32 v43, v1, v102
	v_lshlrev_b32_e32 v2, 3, v2
	v_lshrrev_b16_e32 v86, 9, v10
	v_add_f32_e32 v67, v43, v104
	v_add_f32_e32 v43, v102, v104
	buffer_store_dword v2, off, s[24:27], 0 offset:268 ; 4-byte Folded Spill
	ds_write2_b64 v2, v[58:59], v[60:61] offset1:3
	ds_write_b64 v2, v[4:5] offset:48
	v_mad_legacy_u16 v2, v93, 9, v94
	v_mul_lo_u16_e32 v10, 9, v86
	v_fmac_f32_e32 v1, -0.5, v43
	v_lshlrev_b32_e32 v2, 3, v2
	v_sub_u16_e32 v10, v105, v10
	v_sub_f32_e32 v43, v101, v103
	v_mov_b32_e32 v69, v1
	buffer_store_dword v2, off, s[24:27], 0 offset:248 ; 4-byte Folded Spill
	ds_write2_b64 v2, v[62:63], v[64:65] offset1:3
	ds_write_b64 v2, v[6:7] offset:48
	v_mad_legacy_u16 v2, v99, 9, v100
	v_and_b32_e32 v87, 0xff, v10
	v_fmac_f32_e32 v69, 0xbf5db3d7, v43
	v_fmac_f32_e32 v1, 0x3f5db3d7, v43
	v_lshlrev_b32_e32 v2, 3, v2
	v_lshlrev_b32_e32 v10, 4, v87
	buffer_store_dword v2, off, s[24:27], 0 offset:228 ; 4-byte Folded Spill
	ds_write2_b64 v2, v[66:67], v[68:69] offset1:3
	ds_write_b64 v2, v[0:1] offset:48
	s_waitcnt vmcnt(0) lgkmcnt(0)
	s_barrier
	ds_read2_b64 v[48:51], v88 offset1:243
	ds_read2_b64 v[12:15], v247 offset0:8 offset1:251
	ds_read2_b64 v[2:5], v121 offset0:6 offset1:249
	;; [unrolled: 1-line block ×11, first 2 shown]
	ds_read2_b64 v[52:55], v250 offset1:243
	ds_read_b64 v[0:1], v88 offset:50544
	global_load_dwordx4 v[16:19], v10, s[10:11] offset:48
	s_waitcnt vmcnt(0)
	buffer_store_dword v16, off, s[24:27], 0 offset:232 ; 4-byte Folded Spill
	s_nop 0
	buffer_store_dword v17, off, s[24:27], 0 offset:236 ; 4-byte Folded Spill
	buffer_store_dword v18, off, s[24:27], 0 offset:240 ; 4-byte Folded Spill
	;; [unrolled: 1-line block ×3, first 2 shown]
	s_waitcnt lgkmcnt(12)
	v_mul_f32_e32 v10, v15, v17
	v_fma_f32 v10, v14, v16, -v10
	v_mul_f32_e32 v11, v14, v17
	s_waitcnt lgkmcnt(11)
	v_mul_f32_e32 v14, v3, v19
	v_fmac_f32_e32 v11, v15, v16
	v_fma_f32 v14, v2, v18, -v14
	v_mul_f32_e32 v15, v2, v19
	v_mul_u32_u24_sdwa v2, v223, s4 dst_sel:DWORD dst_unused:UNUSED_PAD src0_sel:WORD_0 src1_sel:DWORD
	v_lshrrev_b32_e32 v77, 19, v2
	v_mul_lo_u16_e32 v2, 9, v77
	v_sub_u16_e32 v79, v223, v2
	v_lshlrev_b16_e32 v2, 4, v79
	v_add_co_u32_e32 v2, vcc, s10, v2
	v_fmac_f32_e32 v15, v3, v18
	v_addc_co_u32_e32 v3, vcc, 0, v233, vcc
	global_load_dwordx4 v[16:19], v[2:3], off offset:48
	s_waitcnt vmcnt(0)
	buffer_store_dword v16, off, s[24:27], 0 offset:252 ; 4-byte Folded Spill
	s_nop 0
	buffer_store_dword v17, off, s[24:27], 0 offset:256 ; 4-byte Folded Spill
	buffer_store_dword v18, off, s[24:27], 0 offset:260 ; 4-byte Folded Spill
	;; [unrolled: 1-line block ×3, first 2 shown]
	s_waitcnt lgkmcnt(10)
	v_mul_f32_e32 v2, v7, v17
	v_fma_f32 v44, v6, v16, -v2
	v_mul_f32_e32 v6, v6, v17
	v_mul_f32_e32 v2, v5, v19
	v_fmac_f32_e32 v6, v7, v16
	v_fma_f32 v7, v4, v18, -v2
	v_mul_f32_e32 v4, v4, v19
	v_mul_u32_u24_sdwa v2, v225, s4 dst_sel:DWORD dst_unused:UNUSED_PAD src0_sel:WORD_0 src1_sel:DWORD
	v_fmac_f32_e32 v4, v5, v18
	v_lshrrev_b32_e32 v18, 19, v2
	v_mul_lo_u16_e32 v2, 9, v18
	v_sub_u16_e32 v19, v225, v2
	v_lshlrev_b16_e32 v2, 4, v19
	v_add_co_u32_e32 v2, vcc, s10, v2
	v_addc_co_u32_e32 v3, vcc, 0, v233, vcc
	global_load_dwordx4 v[68:71], v[2:3], off offset:48
	s_waitcnt vmcnt(0)
	buffer_store_dword v68, off, s[24:27], 0 offset:272 ; 4-byte Folded Spill
	s_nop 0
	buffer_store_dword v69, off, s[24:27], 0 offset:276 ; 4-byte Folded Spill
	buffer_store_dword v70, off, s[24:27], 0 offset:280 ; 4-byte Folded Spill
	;; [unrolled: 1-line block ×3, first 2 shown]
	v_mul_f32_e32 v2, v9, v69
	v_fma_f32 v5, v8, v68, -v2
	v_mul_f32_e32 v8, v8, v69
	s_waitcnt lgkmcnt(8)
	v_mul_f32_e32 v2, v29, v71
	v_fmac_f32_e32 v8, v9, v68
	v_fma_f32 v9, v28, v70, -v2
	v_mul_u32_u24_sdwa v2, v230, s4 dst_sel:DWORD dst_unused:UNUSED_PAD src0_sel:WORD_0 src1_sel:DWORD
	v_lshrrev_b32_e32 v72, 19, v2
	v_mul_lo_u16_e32 v2, 9, v72
	v_sub_u16_e32 v73, v230, v2
	v_lshlrev_b16_e32 v2, 4, v73
	v_add_co_u32_e32 v2, vcc, s10, v2
	v_mul_f32_e32 v46, v28, v71
	v_addc_co_u32_e32 v3, vcc, 0, v233, vcc
	v_fmac_f32_e32 v46, v29, v70
	global_load_dwordx4 v[68:71], v[2:3], off offset:48
	s_waitcnt vmcnt(0)
	buffer_store_dword v68, off, s[24:27], 0 offset:312 ; 4-byte Folded Spill
	s_nop 0
	buffer_store_dword v69, off, s[24:27], 0 offset:316 ; 4-byte Folded Spill
	buffer_store_dword v70, off, s[24:27], 0 offset:320 ; 4-byte Folded Spill
	;; [unrolled: 1-line block ×3, first 2 shown]
	s_waitcnt lgkmcnt(7)
	v_mul_f32_e32 v2, v37, v69
	v_fma_f32 v47, v36, v68, -v2
	v_mul_f32_e32 v36, v36, v69
	v_mul_f32_e32 v2, v31, v71
	v_fmac_f32_e32 v36, v37, v68
	v_fma_f32 v37, v30, v70, -v2
	v_mul_u32_u24_sdwa v2, v231, s4 dst_sel:DWORD dst_unused:UNUSED_PAD src0_sel:WORD_0 src1_sel:DWORD
	v_lshrrev_b32_e32 v74, 19, v2
	v_mul_lo_u16_e32 v2, 9, v74
	v_sub_u16_e32 v75, v231, v2
	v_lshlrev_b16_e32 v2, 4, v75
	v_add_co_u32_e32 v2, vcc, s10, v2
	v_mul_f32_e32 v30, v30, v71
	v_addc_co_u32_e32 v3, vcc, 0, v233, vcc
	v_fmac_f32_e32 v30, v31, v70
	global_load_dwordx4 v[68:71], v[2:3], off offset:48
	s_waitcnt vmcnt(0)
	buffer_store_dword v68, off, s[24:27], 0 offset:352 ; 4-byte Folded Spill
	s_nop 0
	buffer_store_dword v69, off, s[24:27], 0 offset:356 ; 4-byte Folded Spill
	buffer_store_dword v70, off, s[24:27], 0 offset:360 ; 4-byte Folded Spill
	buffer_store_dword v71, off, s[24:27], 0 offset:364 ; 4-byte Folded Spill
	v_mul_f32_e32 v2, v39, v69
	v_fma_f32 v31, v38, v68, -v2
	v_mul_f32_e32 v38, v38, v69
	s_waitcnt lgkmcnt(5)
	v_mul_f32_e32 v2, v57, v71
	v_fmac_f32_e32 v38, v39, v68
	v_fma_f32 v39, v56, v70, -v2
	v_mul_u32_u24_sdwa v2, v229, s4 dst_sel:DWORD dst_unused:UNUSED_PAD src0_sel:WORD_0 src1_sel:DWORD
	v_lshrrev_b32_e32 v76, 19, v2
	v_mul_lo_u16_e32 v2, 9, v76
	v_sub_u16_e32 v78, v229, v2
	v_lshlrev_b16_e32 v2, 4, v78
	v_add_co_u32_e32 v2, vcc, s10, v2
	v_mul_f32_e32 v89, v56, v71
	v_addc_co_u32_e32 v3, vcc, 0, v233, vcc
	v_fmac_f32_e32 v89, v57, v70
	global_load_dwordx4 v[68:71], v[2:3], off offset:48
	s_waitcnt vmcnt(0)
	buffer_store_dword v68, off, s[24:27], 0 offset:396 ; 4-byte Folded Spill
	s_nop 0
	buffer_store_dword v69, off, s[24:27], 0 offset:400 ; 4-byte Folded Spill
	buffer_store_dword v70, off, s[24:27], 0 offset:404 ; 4-byte Folded Spill
	;; [unrolled: 1-line block ×3, first 2 shown]
	s_waitcnt lgkmcnt(4)
	v_mul_f32_e32 v2, v61, v69
	v_fma_f32 v90, v60, v68, -v2
	v_mul_f32_e32 v60, v60, v69
	v_mul_f32_e32 v2, v59, v71
	v_fmac_f32_e32 v60, v61, v68
	v_fma_f32 v61, v58, v70, -v2
	v_mul_u32_u24_sdwa v2, v45, s4 dst_sel:DWORD dst_unused:UNUSED_PAD src0_sel:WORD_0 src1_sel:DWORD
	v_lshrrev_b32_e32 v80, 19, v2
	v_mul_lo_u16_e32 v2, 9, v80
	v_sub_u16_e32 v81, v45, v2
	v_lshlrev_b16_e32 v2, 4, v81
	v_add_co_u32_e32 v2, vcc, s10, v2
	v_mul_f32_e32 v91, v58, v71
	v_addc_co_u32_e32 v3, vcc, 0, v233, vcc
	v_fmac_f32_e32 v91, v59, v70
	global_load_dwordx4 v[56:59], v[2:3], off offset:48
	s_waitcnt vmcnt(0)
	buffer_store_dword v56, off, s[24:27], 0 offset:460 ; 4-byte Folded Spill
	s_nop 0
	buffer_store_dword v57, off, s[24:27], 0 offset:464 ; 4-byte Folded Spill
	buffer_store_dword v58, off, s[24:27], 0 offset:468 ; 4-byte Folded Spill
	;; [unrolled: 1-line block ×3, first 2 shown]
	v_mul_f32_e32 v2, v63, v57
	v_fma_f32 v92, v62, v56, -v2
	v_mul_f32_e32 v62, v62, v57
	s_waitcnt lgkmcnt(2)
	v_mul_f32_e32 v2, v65, v59
	v_fmac_f32_e32 v62, v63, v56
	v_fma_f32 v63, v64, v58, -v2
	v_mul_u32_u24_sdwa v2, v228, s4 dst_sel:DWORD dst_unused:UNUSED_PAD src0_sel:WORD_0 src1_sel:DWORD
	v_lshrrev_b32_e32 v82, 19, v2
	v_mul_lo_u16_e32 v2, 9, v82
	v_sub_u16_e32 v83, v228, v2
	v_lshlrev_b16_e32 v2, 4, v83
	v_add_co_u32_e32 v2, vcc, s10, v2
	v_mul_f32_e32 v64, v64, v59
	v_addc_co_u32_e32 v3, vcc, 0, v233, vcc
	v_fmac_f32_e32 v64, v65, v58
	global_load_dwordx4 v[56:59], v[2:3], off offset:48
	s_waitcnt vmcnt(0)
	buffer_store_dword v56, off, s[24:27], 0 offset:724 ; 4-byte Folded Spill
	s_nop 0
	buffer_store_dword v57, off, s[24:27], 0 offset:728 ; 4-byte Folded Spill
	buffer_store_dword v58, off, s[24:27], 0 offset:732 ; 4-byte Folded Spill
	;; [unrolled: 1-line block ×3, first 2 shown]
	s_waitcnt lgkmcnt(1)
	v_mul_f32_e32 v2, v53, v57
	v_fma_f32 v65, v52, v56, -v2
	v_mul_f32_e32 v2, v67, v59
	v_fma_f32 v94, v66, v58, -v2
	v_mul_u32_u24_sdwa v2, v232, s4 dst_sel:DWORD dst_unused:UNUSED_PAD src0_sel:WORD_0 src1_sel:DWORD
	v_lshrrev_b32_e32 v84, 19, v2
	v_mul_lo_u16_e32 v2, 9, v84
	v_sub_u16_e32 v85, v232, v2
	v_lshlrev_b16_e32 v2, 4, v85
	v_add_co_u32_e32 v2, vcc, s10, v2
	v_mul_f32_e32 v66, v66, v59
	v_addc_co_u32_e32 v3, vcc, 0, v233, vcc
	v_fmac_f32_e32 v66, v67, v58
	global_load_dwordx4 v[67:70], v[2:3], off offset:48
	v_mul_f32_e32 v93, v52, v57
	v_fmac_f32_e32 v93, v53, v56
	s_movk_i32 s4, 0x2f69
	v_mov_b32_e32 v56, v247
	v_mov_b32_e32 v59, v246
	s_waitcnt vmcnt(0)
	v_mov_b32_e32 v71, v70
	v_mov_b32_e32 v70, v69
	;; [unrolled: 1-line block ×4, first 2 shown]
	buffer_store_dword v68, off, s[24:27], 0 offset:556 ; 4-byte Folded Spill
	s_nop 0
	buffer_store_dword v69, off, s[24:27], 0 offset:560 ; 4-byte Folded Spill
	buffer_store_dword v70, off, s[24:27], 0 offset:564 ; 4-byte Folded Spill
	;; [unrolled: 1-line block ×3, first 2 shown]
	s_waitcnt vmcnt(0) lgkmcnt(0)
	s_barrier
	v_mul_f32_e32 v2, v55, v69
	v_fma_f32 v67, v54, v68, -v2
	v_mul_f32_e32 v2, v1, v71
	v_fma_f32 v96, v0, v70, -v2
	v_mul_f32_e32 v97, v0, v71
	v_add_f32_e32 v0, v48, v10
	v_add_f32_e32 v22, v0, v14
	;; [unrolled: 1-line block ×3, first 2 shown]
	v_fma_f32 v16, -0.5, v0, v48
	v_sub_f32_e32 v0, v11, v15
	v_mov_b32_e32 v28, v16
	v_fmac_f32_e32 v28, 0x3f5db3d7, v0
	v_fmac_f32_e32 v16, 0xbf5db3d7, v0
	v_add_f32_e32 v0, v49, v11
	v_add_f32_e32 v23, v0, v15
	;; [unrolled: 1-line block ×3, first 2 shown]
	v_fma_f32 v17, -0.5, v0, v49
	v_sub_f32_e32 v0, v10, v14
	v_mov_b32_e32 v29, v17
	v_mul_f32_e32 v95, v54, v69
	v_fmac_f32_e32 v29, 0xbf5db3d7, v0
	v_fmac_f32_e32 v17, 0x3f5db3d7, v0
	v_add_f32_e32 v0, v50, v44
	v_fmac_f32_e32 v95, v55, v68
	v_add_f32_e32 v68, v0, v7
	v_add_f32_e32 v0, v44, v7
	v_fma_f32 v50, -0.5, v0, v50
	v_fmac_f32_e32 v97, v1, v70
	v_sub_f32_e32 v0, v6, v4
	v_mov_b32_e32 v70, v50
	v_fmac_f32_e32 v70, 0x3f5db3d7, v0
	v_fmac_f32_e32 v50, 0xbf5db3d7, v0
	v_add_f32_e32 v0, v51, v6
	v_add_f32_e32 v69, v0, v4
	;; [unrolled: 1-line block ×3, first 2 shown]
	v_fmac_f32_e32 v51, -0.5, v0
	v_sub_f32_e32 v0, v44, v7
	v_mov_b32_e32 v71, v51
	v_fmac_f32_e32 v71, 0xbf5db3d7, v0
	v_fmac_f32_e32 v51, 0x3f5db3d7, v0
	v_add_f32_e32 v0, v40, v5
	v_add_f32_e32 v2, v0, v9
	;; [unrolled: 1-line block ×3, first 2 shown]
	v_fma_f32 v0, -0.5, v0, v40
	v_sub_f32_e32 v1, v8, v46
	v_mov_b32_e32 v4, v0
	v_fmac_f32_e32 v4, 0x3f5db3d7, v1
	v_fmac_f32_e32 v0, 0xbf5db3d7, v1
	v_add_f32_e32 v1, v41, v8
	v_add_f32_e32 v3, v1, v46
	;; [unrolled: 1-line block ×3, first 2 shown]
	v_fma_f32 v1, -0.5, v1, v41
	v_sub_f32_e32 v6, v5, v9
	v_mov_b32_e32 v5, v1
	v_add_f32_e32 v7, v47, v37
	v_fmac_f32_e32 v5, 0xbf5db3d7, v6
	v_fmac_f32_e32 v1, 0x3f5db3d7, v6
	v_add_f32_e32 v6, v42, v47
	v_fma_f32 v42, -0.5, v7, v42
	v_sub_f32_e32 v7, v36, v30
	v_mov_b32_e32 v8, v42
	v_add_f32_e32 v9, v36, v30
	v_fmac_f32_e32 v8, 0x3f5db3d7, v7
	v_fmac_f32_e32 v42, 0xbf5db3d7, v7
	v_add_f32_e32 v7, v43, v36
	v_fmac_f32_e32 v43, -0.5, v9
	v_sub_f32_e32 v10, v47, v37
	v_mov_b32_e32 v9, v43
	v_fmac_f32_e32 v9, 0xbf5db3d7, v10
	v_fmac_f32_e32 v43, 0x3f5db3d7, v10
	v_add_f32_e32 v10, v32, v31
	v_add_f32_e32 v14, v10, v39
	;; [unrolled: 1-line block ×3, first 2 shown]
	v_fma_f32 v10, -0.5, v10, v32
	v_sub_f32_e32 v11, v38, v89
	v_mov_b32_e32 v32, v10
	v_fmac_f32_e32 v32, 0x3f5db3d7, v11
	v_fmac_f32_e32 v10, 0xbf5db3d7, v11
	v_add_f32_e32 v11, v33, v38
	v_add_f32_e32 v15, v11, v89
	;; [unrolled: 1-line block ×3, first 2 shown]
	v_fma_f32 v11, -0.5, v11, v33
	v_add_f32_e32 v7, v7, v30
	v_sub_f32_e32 v30, v31, v39
	v_mov_b32_e32 v33, v11
	v_fmac_f32_e32 v33, 0xbf5db3d7, v30
	v_fmac_f32_e32 v11, 0x3f5db3d7, v30
	v_add_f32_e32 v30, v34, v90
	v_add_f32_e32 v40, v30, v61
	;; [unrolled: 1-line block ×3, first 2 shown]
	v_fma_f32 v34, -0.5, v30, v34
	v_sub_f32_e32 v30, v60, v91
	v_mov_b32_e32 v48, v34
	v_fmac_f32_e32 v48, 0x3f5db3d7, v30
	v_fmac_f32_e32 v34, 0xbf5db3d7, v30
	v_add_f32_e32 v30, v35, v60
	v_add_f32_e32 v41, v30, v91
	;; [unrolled: 1-line block ×3, first 2 shown]
	v_fmac_f32_e32 v35, -0.5, v30
	v_sub_f32_e32 v30, v90, v61
	v_mov_b32_e32 v49, v35
	v_fmac_f32_e32 v49, 0xbf5db3d7, v30
	v_fmac_f32_e32 v35, 0x3f5db3d7, v30
	v_add_f32_e32 v30, v24, v92
	v_add_f32_e32 v52, v30, v63
	v_add_f32_e32 v30, v92, v63
	v_fma_f32 v24, -0.5, v30, v24
	v_sub_f32_e32 v30, v62, v64
	v_mov_b32_e32 v54, v24
	v_fmac_f32_e32 v54, 0x3f5db3d7, v30
	v_fmac_f32_e32 v24, 0xbf5db3d7, v30
	v_add_f32_e32 v30, v25, v62
	v_add_f32_e32 v53, v30, v64
	v_add_f32_e32 v30, v62, v64
	v_fma_f32 v25, -0.5, v30, v25
	;; [unrolled: 8-line block ×3, first 2 shown]
	v_sub_f32_e32 v30, v93, v66
	v_mov_b32_e32 v62, v26
	v_fmac_f32_e32 v62, 0x3f5db3d7, v30
	v_fmac_f32_e32 v26, 0xbf5db3d7, v30
	v_add_f32_e32 v30, v27, v93
	v_add_f32_e32 v61, v30, v66
	;; [unrolled: 1-line block ×3, first 2 shown]
	v_fmac_f32_e32 v27, -0.5, v30
	v_sub_f32_e32 v30, v65, v94
	v_mov_b32_e32 v63, v27
	v_fmac_f32_e32 v63, 0xbf5db3d7, v30
	v_fmac_f32_e32 v27, 0x3f5db3d7, v30
	v_add_f32_e32 v30, v12, v67
	v_add_f32_e32 v64, v30, v96
	;; [unrolled: 1-line block ×3, first 2 shown]
	v_fma_f32 v12, -0.5, v30, v12
	v_sub_f32_e32 v30, v95, v97
	v_mov_b32_e32 v66, v12
	v_fmac_f32_e32 v66, 0x3f5db3d7, v30
	v_fmac_f32_e32 v12, 0xbf5db3d7, v30
	v_add_f32_e32 v30, v13, v95
	v_add_f32_e32 v65, v30, v97
	;; [unrolled: 1-line block ×3, first 2 shown]
	v_fmac_f32_e32 v13, -0.5, v30
	v_sub_f32_e32 v30, v67, v96
	v_mov_b32_e32 v67, v13
	v_fmac_f32_e32 v67, 0xbf5db3d7, v30
	v_fmac_f32_e32 v13, 0x3f5db3d7, v30
	v_mul_u32_u24_e32 v30, 27, v86
	v_add_lshl_u32 v30, v30, v87, 3
	ds_write_b64 v30, v[16:17] offset:144
	v_mad_legacy_u16 v16, v77, 27, v79
	v_lshlrev_b32_e32 v16, 3, v16
	ds_write2_b64 v30, v[22:23], v[28:29] offset1:9
	ds_write2_b64 v16, v[68:69], v[70:71] offset1:9
	buffer_store_dword v16, off, s[24:27], 0 offset:500 ; 4-byte Folded Spill
	ds_write_b64 v16, v[50:51] offset:144
	v_mad_legacy_u16 v16, v18, 27, v19
	v_lshlrev_b32_e32 v16, 3, v16
	buffer_store_dword v30, off, s[24:27], 0 offset:372 ; 4-byte Folded Spill
	buffer_store_dword v16, off, s[24:27], 0 offset:540 ; 4-byte Folded Spill
	ds_write2_b64 v16, v[2:3], v[4:5] offset1:9
	ds_write_b64 v16, v[0:1] offset:144
	v_mad_legacy_u16 v0, v72, 27, v73
	v_add_f32_e32 v6, v6, v37
	v_lshlrev_b32_e32 v0, 3, v0
	buffer_store_dword v0, off, s[24:27], 0 offset:496 ; 4-byte Folded Spill
	ds_write2_b64 v0, v[6:7], v[8:9] offset1:9
	ds_write_b64 v0, v[42:43] offset:144
	v_mad_legacy_u16 v0, v74, 27, v75
	v_lshlrev_b32_e32 v0, 3, v0
	buffer_store_dword v0, off, s[24:27], 0 offset:476 ; 4-byte Folded Spill
	ds_write2_b64 v0, v[14:15], v[32:33] offset1:9
	ds_write_b64 v0, v[10:11] offset:144
	v_mad_legacy_u16 v0, v76, 27, v78
	;; [unrolled: 5-line block ×3, first 2 shown]
	v_lshlrev_b32_e32 v0, 3, v0
	buffer_store_dword v0, off, s[24:27], 0 offset:368 ; 4-byte Folded Spill
	ds_write2_b64 v0, v[52:53], v[54:55] offset1:9
	ds_write_b64 v0, v[24:25] offset:144
	v_mov_b32_e32 v24, 19
	v_mul_lo_u16_sdwa v24, v105, v24 dst_sel:DWORD dst_unused:UNUSED_PAD src0_sel:BYTE_0 src1_sel:DWORD
	v_lshrrev_b16_e32 v102, 9, v24
	v_mad_legacy_u16 v0, v82, 27, v83
	v_mul_lo_u16_e32 v24, 27, v102
	v_lshlrev_b32_e32 v0, 3, v0
	v_sub_u16_e32 v24, v105, v24
	buffer_store_dword v0, off, s[24:27], 0 offset:328 ; 4-byte Folded Spill
	ds_write2_b64 v0, v[60:61], v[62:63] offset1:9
	ds_write_b64 v0, v[26:27] offset:144
	v_mad_legacy_u16 v0, v84, 27, v85
	v_and_b32_e32 v103, 0xff, v24
	v_lshlrev_b32_e32 v0, 3, v0
	v_lshlrev_b32_e32 v24, 4, v103
	buffer_store_dword v0, off, s[24:27], 0 offset:288 ; 4-byte Folded Spill
	ds_write2_b64 v0, v[64:65], v[66:67] offset1:9
	ds_write_b64 v0, v[12:13] offset:144
	s_waitcnt vmcnt(0) lgkmcnt(0)
	s_barrier
	ds_read2_b64 v[80:83], v88 offset1:243
	ds_read2_b64 v[48:51], v247 offset0:8 offset1:251
	ds_read2_b64 v[0:3], v121 offset0:6 offset1:249
	;; [unrolled: 1-line block ×11, first 2 shown]
	ds_read2_b64 v[152:155], v250 offset1:243
	ds_read_b64 v[22:23], v88 offset:50544
	global_load_dwordx4 v[28:31], v24, s[10:11] offset:192
	s_waitcnt vmcnt(0)
	buffer_store_dword v28, off, s[24:27], 0 offset:292 ; 4-byte Folded Spill
	s_nop 0
	buffer_store_dword v29, off, s[24:27], 0 offset:296 ; 4-byte Folded Spill
	buffer_store_dword v30, off, s[24:27], 0 offset:300 ; 4-byte Folded Spill
	;; [unrolled: 1-line block ×3, first 2 shown]
	v_mov_b32_e32 v54, v244
	v_mov_b32_e32 v53, v243
	s_waitcnt lgkmcnt(12)
	v_mul_f32_e32 v24, v51, v29
	v_fma_f32 v27, v50, v28, -v24
	v_mul_f32_e32 v25, v50, v29
	s_waitcnt lgkmcnt(11)
	v_mul_f32_e32 v24, v1, v31
	v_fmac_f32_e32 v25, v51, v28
	v_fma_f32 v28, v0, v30, -v24
	v_mul_f32_e32 v29, v0, v31
	v_mul_u32_u24_sdwa v0, v223, s4 dst_sel:DWORD dst_unused:UNUSED_PAD src0_sel:WORD_0 src1_sel:DWORD
	v_fmac_f32_e32 v29, v1, v30
	v_sub_u16_sdwa v1, v223, v0 dst_sel:DWORD dst_unused:UNUSED_PAD src0_sel:DWORD src1_sel:WORD_1
	v_lshrrev_b16_e32 v1, 1, v1
	v_add_u16_sdwa v0, v1, v0 dst_sel:DWORD dst_unused:UNUSED_PAD src0_sel:DWORD src1_sel:WORD_1
	v_lshrrev_b16_e32 v95, 4, v0
	v_mul_lo_u16_e32 v0, 27, v95
	v_sub_u16_e32 v101, v223, v0
	v_lshlrev_b16_e32 v0, 4, v101
	v_add_co_u32_e32 v0, vcc, s10, v0
	v_addc_co_u32_e32 v1, vcc, 0, v233, vcc
	global_load_dwordx4 v[32:35], v[0:1], off offset:192
	s_waitcnt vmcnt(0)
	buffer_store_dword v32, off, s[24:27], 0 offset:332 ; 4-byte Folded Spill
	s_nop 0
	buffer_store_dword v33, off, s[24:27], 0 offset:336 ; 4-byte Folded Spill
	buffer_store_dword v34, off, s[24:27], 0 offset:340 ; 4-byte Folded Spill
	;; [unrolled: 1-line block ×3, first 2 shown]
	s_waitcnt lgkmcnt(10)
	v_mul_f32_e32 v0, v5, v33
	v_fma_f32 v31, v4, v32, -v0
	v_mul_f32_e32 v4, v4, v33
	v_mul_f32_e32 v0, v3, v35
	v_fmac_f32_e32 v4, v5, v32
	v_fma_f32 v5, v2, v34, -v0
	v_mul_u32_u24_sdwa v0, v225, s4 dst_sel:DWORD dst_unused:UNUSED_PAD src0_sel:WORD_0 src1_sel:DWORD
	v_sub_u16_sdwa v1, v225, v0 dst_sel:DWORD dst_unused:UNUSED_PAD src0_sel:DWORD src1_sel:WORD_1
	v_lshrrev_b16_e32 v1, 1, v1
	v_add_u16_sdwa v0, v1, v0 dst_sel:DWORD dst_unused:UNUSED_PAD src0_sel:DWORD src1_sel:WORD_1
	v_lshrrev_b16_e32 v93, 4, v0
	v_mul_lo_u16_e32 v0, 27, v93
	v_sub_u16_e32 v100, v225, v0
	v_lshlrev_b16_e32 v0, 4, v100
	v_add_co_u32_e32 v0, vcc, s10, v0
	v_mul_f32_e32 v2, v2, v35
	v_addc_co_u32_e32 v1, vcc, 0, v233, vcc
	v_fmac_f32_e32 v2, v3, v34
	global_load_dwordx4 v[32:35], v[0:1], off offset:192
	s_waitcnt vmcnt(0)
	buffer_store_dword v32, off, s[24:27], 0 offset:376 ; 4-byte Folded Spill
	s_nop 0
	buffer_store_dword v33, off, s[24:27], 0 offset:380 ; 4-byte Folded Spill
	buffer_store_dword v34, off, s[24:27], 0 offset:384 ; 4-byte Folded Spill
	;; [unrolled: 1-line block ×3, first 2 shown]
	v_mul_f32_e32 v0, v7, v33
	v_fma_f32 v3, v6, v32, -v0
	v_mul_f32_e32 v6, v6, v33
	s_waitcnt lgkmcnt(8)
	v_mul_f32_e32 v0, v9, v35
	v_fmac_f32_e32 v6, v7, v32
	v_fma_f32 v7, v8, v34, -v0
	v_mul_u32_u24_sdwa v0, v230, s4 dst_sel:DWORD dst_unused:UNUSED_PAD src0_sel:WORD_0 src1_sel:DWORD
	v_sub_u16_sdwa v1, v230, v0 dst_sel:DWORD dst_unused:UNUSED_PAD src0_sel:DWORD src1_sel:WORD_1
	v_lshrrev_b16_e32 v1, 1, v1
	v_add_u16_sdwa v0, v1, v0 dst_sel:DWORD dst_unused:UNUSED_PAD src0_sel:DWORD src1_sel:WORD_1
	v_lshrrev_b16_e32 v91, 4, v0
	v_mul_lo_u16_e32 v0, 27, v91
	v_sub_u16_e32 v94, v230, v0
	v_lshlrev_b16_e32 v0, 4, v94
	v_add_co_u32_e32 v0, vcc, s10, v0
	v_mul_f32_e32 v8, v8, v35
	v_addc_co_u32_e32 v1, vcc, 0, v233, vcc
	v_fmac_f32_e32 v8, v9, v34
	global_load_dwordx4 v[32:35], v[0:1], off offset:192
	s_waitcnt vmcnt(0)
	buffer_store_dword v32, off, s[24:27], 0 offset:440 ; 4-byte Folded Spill
	s_nop 0
	buffer_store_dword v33, off, s[24:27], 0 offset:444 ; 4-byte Folded Spill
	buffer_store_dword v34, off, s[24:27], 0 offset:448 ; 4-byte Folded Spill
	;; [unrolled: 1-line block ×3, first 2 shown]
	s_waitcnt lgkmcnt(7)
	v_mul_f32_e32 v0, v13, v33
	v_fma_f32 v9, v12, v32, -v0
	v_mul_f32_e32 v33, v12, v33
	v_mul_f32_e32 v0, v11, v35
	v_fmac_f32_e32 v33, v13, v32
	v_fma_f32 v13, v10, v34, -v0
	v_mul_u32_u24_sdwa v0, v231, s4 dst_sel:DWORD dst_unused:UNUSED_PAD src0_sel:WORD_0 src1_sel:DWORD
	v_sub_u16_sdwa v1, v231, v0 dst_sel:DWORD dst_unused:UNUSED_PAD src0_sel:DWORD src1_sel:WORD_1
	v_lshrrev_b16_e32 v1, 1, v1
	v_add_u16_sdwa v0, v1, v0 dst_sel:DWORD dst_unused:UNUSED_PAD src0_sel:DWORD src1_sel:WORD_1
	v_lshrrev_b16_e32 v90, 4, v0
	v_mul_lo_u16_e32 v0, 27, v90
	v_sub_u16_e32 v92, v231, v0
	v_lshlrev_b16_e32 v0, 4, v92
	v_add_co_u32_e32 v0, vcc, s10, v0
	v_addc_co_u32_e32 v1, vcc, 0, v233, vcc
	v_mul_f32_e32 v10, v10, v35
	global_load_dwordx4 v[35:38], v[0:1], off offset:192
	s_waitcnt vmcnt(0)
	buffer_store_dword v35, off, s[24:27], 0 offset:708 ; 4-byte Folded Spill
	s_nop 0
	buffer_store_dword v36, off, s[24:27], 0 offset:712 ; 4-byte Folded Spill
	buffer_store_dword v37, off, s[24:27], 0 offset:716 ; 4-byte Folded Spill
	;; [unrolled: 1-line block ×3, first 2 shown]
	v_fmac_f32_e32 v10, v11, v34
	v_mul_f32_e32 v0, v15, v36
	v_fma_f32 v11, v14, v35, -v0
	v_mul_f32_e32 v34, v14, v36
	s_waitcnt lgkmcnt(5)
	v_mul_f32_e32 v0, v17, v38
	v_fmac_f32_e32 v34, v15, v35
	v_fma_f32 v35, v16, v37, -v0
	v_mul_u32_u24_sdwa v0, v229, s4 dst_sel:DWORD dst_unused:UNUSED_PAD src0_sel:WORD_0 src1_sel:DWORD
	v_sub_u16_sdwa v1, v229, v0 dst_sel:DWORD dst_unused:UNUSED_PAD src0_sel:DWORD src1_sel:WORD_1
	v_lshrrev_b16_e32 v1, 1, v1
	v_add_u16_sdwa v0, v1, v0 dst_sel:DWORD dst_unused:UNUSED_PAD src0_sel:DWORD src1_sel:WORD_1
	v_lshrrev_b16_e32 v32, 4, v0
	v_mul_lo_u16_e32 v0, 27, v32
	v_sub_u16_e32 v89, v229, v0
	v_lshlrev_b16_e32 v0, 4, v89
	v_add_co_u32_e32 v0, vcc, s10, v0
	v_addc_co_u32_e32 v1, vcc, 0, v233, vcc
	global_load_dwordx4 v[64:67], v[0:1], off offset:192
	v_mul_f32_e32 v36, v16, v38
	v_fmac_f32_e32 v36, v17, v37
	s_waitcnt vmcnt(0) lgkmcnt(4)
	v_mul_f32_e32 v0, v77, v65
	v_fma_f32 v37, v76, v64, -v0
	v_mul_f32_e32 v0, v19, v67
	v_fma_f32 v39, v18, v66, -v0
	v_mul_u32_u24_sdwa v0, v45, s4 dst_sel:DWORD dst_unused:UNUSED_PAD src0_sel:WORD_0 src1_sel:DWORD
	v_sub_u16_sdwa v1, v45, v0 dst_sel:DWORD dst_unused:UNUSED_PAD src0_sel:DWORD src1_sel:WORD_1
	v_lshrrev_b16_e32 v1, 1, v1
	v_add_u16_sdwa v0, v1, v0 dst_sel:DWORD dst_unused:UNUSED_PAD src0_sel:DWORD src1_sel:WORD_1
	v_lshrrev_b16_e32 v140, 4, v0
	v_mul_lo_u16_e32 v0, 27, v140
	v_sub_u16_e32 v141, v45, v0
	v_lshlrev_b16_e32 v0, 4, v141
	v_add_co_u32_e32 v0, vcc, s10, v0
	v_addc_co_u32_e32 v1, vcc, 0, v233, vcc
	global_load_dwordx4 v[96:99], v[0:1], off offset:192
	v_mul_f32_e32 v38, v76, v65
	v_fmac_f32_e32 v38, v77, v64
	v_mul_f32_e32 v40, v18, v67
	v_fmac_f32_e32 v40, v19, v66
	s_waitcnt vmcnt(0)
	v_mul_f32_e32 v0, v79, v97
	v_fma_f32 v41, v78, v96, -v0
	s_waitcnt lgkmcnt(2)
	v_mul_f32_e32 v0, v85, v99
	v_fma_f32 v43, v84, v98, -v0
	v_mul_u32_u24_sdwa v0, v228, s4 dst_sel:DWORD dst_unused:UNUSED_PAD src0_sel:WORD_0 src1_sel:DWORD
	v_sub_u16_sdwa v1, v228, v0 dst_sel:DWORD dst_unused:UNUSED_PAD src0_sel:DWORD src1_sel:WORD_1
	v_lshrrev_b16_e32 v1, 1, v1
	v_add_u16_sdwa v0, v1, v0 dst_sel:DWORD dst_unused:UNUSED_PAD src0_sel:DWORD src1_sel:WORD_1
	v_lshrrev_b16_e32 v120, 4, v0
	v_mul_lo_u16_e32 v0, 27, v120
	v_sub_u16_e32 v121, v228, v0
	v_lshlrev_b16_e32 v0, 4, v121
	v_add_co_u32_e32 v0, vcc, s10, v0
	v_addc_co_u32_e32 v1, vcc, 0, v233, vcc
	global_load_dwordx4 v[104:107], v[0:1], off offset:192
	v_mul_f32_e32 v42, v78, v97
	v_fmac_f32_e32 v42, v79, v96
	v_mul_f32_e32 v44, v84, v99
	v_fmac_f32_e32 v44, v85, v98
	s_waitcnt vmcnt(0) lgkmcnt(1)
	v_mul_f32_e32 v0, v153, v105
	v_fma_f32 v46, v152, v104, -v0
	v_mul_f32_e32 v0, v87, v107
	v_fma_f32 v50, v86, v106, -v0
	v_mul_u32_u24_sdwa v0, v232, s4 dst_sel:DWORD dst_unused:UNUSED_PAD src0_sel:WORD_0 src1_sel:DWORD
	v_sub_u16_sdwa v1, v232, v0 dst_sel:DWORD dst_unused:UNUSED_PAD src0_sel:DWORD src1_sel:WORD_1
	v_lshrrev_b16_e32 v1, 1, v1
	v_add_u16_sdwa v0, v1, v0 dst_sel:DWORD dst_unused:UNUSED_PAD src0_sel:DWORD src1_sel:WORD_1
	v_lshrrev_b16_e32 v122, 4, v0
	v_mul_lo_u16_e32 v0, 27, v122
	v_sub_u16_e32 v123, v232, v0
	v_lshlrev_b16_e32 v0, 4, v123
	v_add_co_u32_e32 v0, vcc, s10, v0
	v_addc_co_u32_e32 v1, vcc, 0, v233, vcc
	global_load_dwordx4 v[76:79], v[0:1], off offset:192
	v_mul_f32_e32 v47, v152, v105
	v_fmac_f32_e32 v47, v153, v104
	v_mul_f32_e32 v51, v86, v107
	v_fmac_f32_e32 v51, v87, v106
	v_add_f32_e32 v1, v46, v50
	s_movk_i32 s4, 0x51
	s_waitcnt vmcnt(0) lgkmcnt(0)
	s_barrier
	v_mul_f32_e32 v0, v155, v77
	v_fma_f32 v142, v154, v76, -v0
	v_mul_f32_e32 v0, v23, v79
	v_fma_f32 v152, v22, v78, -v0
	v_add_f32_e32 v0, v80, v27
	v_mul_f32_e32 v153, v22, v79
	v_add_f32_e32 v22, v0, v28
	v_add_f32_e32 v0, v27, v28
	v_fma_f32 v24, -0.5, v0, v80
	v_sub_f32_e32 v0, v25, v29
	v_mov_b32_e32 v26, v24
	v_fmac_f32_e32 v26, 0x3f5db3d7, v0
	v_fmac_f32_e32 v24, 0xbf5db3d7, v0
	v_add_f32_e32 v0, v81, v25
	v_fmac_f32_e32 v153, v23, v78
	v_add_f32_e32 v23, v0, v29
	v_add_f32_e32 v0, v25, v29
	v_fma_f32 v25, -0.5, v0, v81
	v_sub_f32_e32 v0, v27, v28
	v_mov_b32_e32 v27, v25
	v_fmac_f32_e32 v27, 0xbf5db3d7, v0
	v_fmac_f32_e32 v25, 0x3f5db3d7, v0
	v_add_f32_e32 v0, v82, v31
	v_add_f32_e32 v28, v0, v5
	v_add_f32_e32 v0, v31, v5
	v_fma_f32 v82, -0.5, v0, v82
	v_sub_f32_e32 v0, v4, v2
	v_mov_b32_e32 v30, v82
	v_fmac_f32_e32 v30, 0x3f5db3d7, v0
	v_fmac_f32_e32 v82, 0xbf5db3d7, v0
	v_add_f32_e32 v0, v83, v4
	v_add_f32_e32 v29, v0, v2
	v_add_f32_e32 v0, v4, v2
	v_fmac_f32_e32 v83, -0.5, v0
	v_sub_f32_e32 v0, v31, v5
	v_mov_b32_e32 v31, v83
	v_fmac_f32_e32 v31, 0xbf5db3d7, v0
	v_fmac_f32_e32 v83, 0x3f5db3d7, v0
	v_add_f32_e32 v0, v72, v3
	v_add_f32_e32 v16, v0, v7
	v_add_f32_e32 v0, v3, v7
	v_fma_f32 v14, -0.5, v0, v72
	v_sub_f32_e32 v0, v6, v8
	v_mov_b32_e32 v18, v14
	v_fmac_f32_e32 v18, 0x3f5db3d7, v0
	v_fmac_f32_e32 v14, 0xbf5db3d7, v0
	v_add_f32_e32 v0, v73, v6
	v_add_f32_e32 v17, v0, v8
	v_add_f32_e32 v0, v6, v8
	v_fma_f32 v15, -0.5, v0, v73
	v_sub_f32_e32 v0, v3, v7
	v_mov_b32_e32 v19, v15
	v_fmac_f32_e32 v19, 0xbf5db3d7, v0
	v_fmac_f32_e32 v15, 0x3f5db3d7, v0
	v_add_f32_e32 v0, v74, v9
	v_add_f32_e32 v86, v0, v13
	v_add_f32_e32 v0, v9, v13
	v_fma_f32 v74, -0.5, v0, v74
	v_sub_f32_e32 v0, v33, v10
	v_mov_b32_e32 v12, v74
	v_fmac_f32_e32 v12, 0x3f5db3d7, v0
	v_fmac_f32_e32 v74, 0xbf5db3d7, v0
	v_add_f32_e32 v0, v75, v33
	v_add_f32_e32 v87, v0, v10
	v_add_f32_e32 v0, v33, v10
	v_fmac_f32_e32 v75, -0.5, v0
	v_sub_f32_e32 v0, v9, v13
	v_mov_b32_e32 v13, v75
	v_fmac_f32_e32 v13, 0xbf5db3d7, v0
	v_fmac_f32_e32 v75, 0x3f5db3d7, v0
	v_add_f32_e32 v0, v68, v11
	v_add_f32_e32 v80, v0, v35
	v_add_f32_e32 v0, v11, v35
	v_fma_f32 v72, -0.5, v0, v68
	v_sub_f32_e32 v0, v34, v36
	v_mov_b32_e32 v84, v72
	v_fmac_f32_e32 v84, 0x3f5db3d7, v0
	v_fmac_f32_e32 v72, 0xbf5db3d7, v0
	v_add_f32_e32 v0, v69, v34
	;; [unrolled: 32-line block ×3, first 2 shown]
	v_add_f32_e32 v7, v0, v44
	v_add_f32_e32 v0, v42, v44
	v_fma_f32 v5, -0.5, v0, v61
	v_sub_f32_e32 v0, v41, v43
	v_mov_b32_e32 v9, v5
	v_fmac_f32_e32 v9, 0xbf5db3d7, v0
	v_fmac_f32_e32 v5, 0x3f5db3d7, v0
	v_add_f32_e32 v0, v62, v46
	v_fma_f32 v62, -0.5, v1, v62
	v_sub_f32_e32 v1, v47, v51
	v_mov_b32_e32 v2, v62
	v_add_f32_e32 v3, v47, v51
	v_fmac_f32_e32 v2, 0x3f5db3d7, v1
	v_fmac_f32_e32 v62, 0xbf5db3d7, v1
	v_add_f32_e32 v1, v63, v47
	v_fmac_f32_e32 v63, -0.5, v3
	v_sub_f32_e32 v33, v46, v50
	v_mov_b32_e32 v3, v63
	v_fmac_f32_e32 v3, 0xbf5db3d7, v33
	v_fmac_f32_e32 v63, 0x3f5db3d7, v33
	v_add_f32_e32 v33, v48, v142
	v_mul_f32_e32 v143, v154, v77
	v_add_f32_e32 v0, v0, v50
	v_add_f32_e32 v50, v33, v152
	;; [unrolled: 1-line block ×3, first 2 shown]
	v_fmac_f32_e32 v143, v155, v76
	v_fma_f32 v48, -0.5, v33, v48
	v_sub_f32_e32 v33, v143, v153
	v_mov_b32_e32 v60, v48
	v_fmac_f32_e32 v60, 0x3f5db3d7, v33
	v_fmac_f32_e32 v48, 0xbf5db3d7, v33
	v_add_f32_e32 v33, v49, v143
	v_add_f32_e32 v1, v1, v51
	;; [unrolled: 1-line block ×4, first 2 shown]
	v_fmac_f32_e32 v49, -0.5, v33
	v_sub_f32_e32 v33, v142, v152
	v_mov_b32_e32 v61, v49
	v_fmac_f32_e32 v61, 0xbf5db3d7, v33
	v_fmac_f32_e32 v49, 0x3f5db3d7, v33
	v_mul_u32_u24_e32 v33, 0x51, v102
	v_add_lshl_u32 v33, v33, v103, 3
	buffer_store_dword v33, off, s[24:27], 0 offset:416 ; 4-byte Folded Spill
	ds_write2_b64 v33, v[22:23], v[26:27] offset1:27
	ds_write_b64 v33, v[24:25] offset:432
	v_mad_legacy_u16 v22, v95, s4, v101
	v_lshlrev_b32_e32 v22, 3, v22
	buffer_store_dword v22, off, s[24:27], 0 offset:420 ; 4-byte Folded Spill
	ds_write2_b64 v22, v[28:29], v[30:31] offset1:27
	ds_write_b64 v22, v[82:83] offset:432
	v_mad_legacy_u16 v22, v93, s4, v100
	v_lshlrev_b32_e32 v22, 3, v22
	;; [unrolled: 5-line block ×6, first 2 shown]
	ds_write_b64 v10, v[4:5] offset:432
	v_mad_legacy_u16 v4, v120, s4, v121
	v_lshlrev_b32_e32 v4, 3, v4
	ds_write2_b64 v10, v[6:7], v[8:9] offset1:27
	ds_write2_b64 v4, v[0:1], v[2:3] offset1:27
	v_mad_legacy_u16 v0, v122, s4, v123
	s_movk_i32 s4, 0xcb
	v_mul_lo_u16_sdwa v24, v168, s4 dst_sel:DWORD dst_unused:UNUSED_PAD src0_sel:BYTE_0 src1_sel:DWORD
	v_lshrrev_b16_e32 v186, 14, v24
	v_mul_lo_u16_e32 v24, 0x51, v186
	v_sub_u16_e32 v24, v168, v24
	v_and_b32_e32 v187, 0xff, v24
	v_lshlrev_b32_e32 v0, 3, v0
	v_lshlrev_b32_e32 v24, 4, v187
	buffer_store_dword v10, off, s[24:27], 0 offset:492 ; 4-byte Folded Spill
	buffer_store_dword v4, off, s[24:27], 0 offset:484 ; 4-byte Folded Spill
	ds_write_b64 v4, v[62:63] offset:432
	buffer_store_dword v0, off, s[24:27], 0 offset:480 ; 4-byte Folded Spill
	ds_write2_b64 v0, v[50:51], v[60:61] offset1:27
	ds_write_b64 v0, v[48:49] offset:432
	s_waitcnt vmcnt(0) lgkmcnt(0)
	s_barrier
	ds_read2_b64 v[160:163], v88 offset1:243
	ds_read2_b64 v[120:123], v247 offset0:8 offset1:251
	ds_read2_b64 v[0:3], v188 offset0:6 offset1:249
	;; [unrolled: 1-line block ×11, first 2 shown]
	ds_read2_b64 v[164:167], v250 offset1:243
	ds_read_b64 v[22:23], v88 offset:50544
	global_load_dwordx4 v[28:31], v24, s[10:11] offset:624
	s_movk_i32 s4, 0x6523
	buffer_store_dword v200, off, s[24:27], 0 offset:224 ; 4-byte Folded Spill
	s_waitcnt vmcnt(1)
	buffer_store_dword v28, off, s[24:27], 0 offset:524 ; 4-byte Folded Spill
	s_nop 0
	buffer_store_dword v29, off, s[24:27], 0 offset:528 ; 4-byte Folded Spill
	buffer_store_dword v30, off, s[24:27], 0 offset:532 ; 4-byte Folded Spill
	;; [unrolled: 1-line block ×3, first 2 shown]
	s_waitcnt lgkmcnt(12)
	v_mul_f32_e32 v24, v123, v29
	v_fma_f32 v27, v122, v28, -v24
	v_mul_f32_e32 v25, v122, v29
	s_waitcnt lgkmcnt(11)
	v_mul_f32_e32 v24, v1, v31
	v_fmac_f32_e32 v25, v123, v28
	v_fma_f32 v28, v0, v30, -v24
	v_mul_f32_e32 v29, v0, v31
	v_mul_u32_u24_sdwa v0, v223, s4 dst_sel:DWORD dst_unused:UNUSED_PAD src0_sel:WORD_0 src1_sel:DWORD
	v_lshrrev_b32_e32 v182, 21, v0
	v_mul_lo_u16_e32 v0, 0x51, v182
	v_sub_u16_e32 v184, v223, v0
	v_lshlrev_b16_e32 v0, 4, v184
	v_add_co_u32_e32 v0, vcc, s10, v0
	v_fmac_f32_e32 v29, v1, v30
	v_addc_co_u32_e32 v1, vcc, 0, v233, vcc
	global_load_dwordx4 v[32:35], v[0:1], off offset:624
	s_waitcnt vmcnt(0)
	buffer_store_dword v32, off, s[24:27], 0 offset:508 ; 4-byte Folded Spill
	s_nop 0
	buffer_store_dword v33, off, s[24:27], 0 offset:512 ; 4-byte Folded Spill
	buffer_store_dword v34, off, s[24:27], 0 offset:516 ; 4-byte Folded Spill
	;; [unrolled: 1-line block ×3, first 2 shown]
	s_waitcnt lgkmcnt(10)
	v_mul_f32_e32 v0, v5, v33
	v_fma_f32 v31, v4, v32, -v0
	v_mul_f32_e32 v4, v4, v33
	v_mul_f32_e32 v0, v3, v35
	v_fmac_f32_e32 v4, v5, v32
	v_fma_f32 v5, v2, v34, -v0
	v_mul_u32_u24_sdwa v0, v225, s4 dst_sel:DWORD dst_unused:UNUSED_PAD src0_sel:WORD_0 src1_sel:DWORD
	v_lshrrev_b32_e32 v183, 21, v0
	v_mul_lo_u16_e32 v0, 0x51, v183
	v_sub_u16_e32 v185, v225, v0
	v_lshlrev_b16_e32 v0, 4, v185
	v_add_co_u32_e32 v0, vcc, s10, v0
	v_addc_co_u32_e32 v1, vcc, 0, v233, vcc
	global_load_dwordx4 v[68:71], v[0:1], off offset:624
	v_mul_f32_e32 v2, v2, v35
	v_fmac_f32_e32 v2, v3, v34
	s_waitcnt vmcnt(0)
	v_mul_f32_e32 v0, v7, v69
	v_fma_f32 v3, v6, v68, -v0
	v_mul_f32_e32 v6, v6, v69
	s_waitcnt lgkmcnt(8)
	v_mul_f32_e32 v0, v9, v71
	v_fmac_f32_e32 v6, v7, v68
	v_fma_f32 v7, v8, v70, -v0
	v_mul_u32_u24_sdwa v0, v230, s4 dst_sel:DWORD dst_unused:UNUSED_PAD src0_sel:WORD_0 src1_sel:DWORD
	v_lshrrev_b32_e32 v176, 21, v0
	v_mul_lo_u16_e32 v0, 0x51, v176
	v_sub_u16_e32 v178, v230, v0
	v_lshlrev_b16_e32 v0, 4, v178
	v_add_co_u32_e32 v0, vcc, s10, v0
	v_addc_co_u32_e32 v1, vcc, 0, v233, vcc
	global_load_dwordx4 v[72:75], v[0:1], off offset:624
	v_mul_f32_e32 v8, v8, v71
	v_fmac_f32_e32 v8, v9, v70
	s_waitcnt vmcnt(0) lgkmcnt(7)
	v_mul_f32_e32 v0, v13, v73
	v_fma_f32 v9, v12, v72, -v0
	v_mul_f32_e32 v0, v11, v75
	v_fma_f32 v33, v10, v74, -v0
	v_mul_u32_u24_sdwa v0, v231, s4 dst_sel:DWORD dst_unused:UNUSED_PAD src0_sel:WORD_0 src1_sel:DWORD
	v_lshrrev_b32_e32 v180, 21, v0
	v_mul_lo_u16_e32 v0, 0x51, v180
	v_sub_u16_e32 v181, v231, v0
	v_lshlrev_b16_e32 v0, 4, v181
	v_add_co_u32_e32 v0, vcc, s10, v0
	v_addc_co_u32_e32 v1, vcc, 0, v233, vcc
	global_load_dwordx4 v[80:83], v[0:1], off offset:624
	v_mul_f32_e32 v10, v10, v75
	v_fmac_f32_e32 v10, v11, v74
	v_mul_f32_e32 v32, v12, v73
	v_fmac_f32_e32 v32, v13, v72
	s_waitcnt vmcnt(0)
	v_mul_f32_e32 v0, v15, v81
	v_fma_f32 v11, v14, v80, -v0
	s_waitcnt lgkmcnt(5)
	v_mul_f32_e32 v0, v17, v83
	v_fma_f32 v35, v16, v82, -v0
	v_mul_u32_u24_sdwa v0, v229, s4 dst_sel:DWORD dst_unused:UNUSED_PAD src0_sel:WORD_0 src1_sel:DWORD
	v_lshrrev_b32_e32 v174, 21, v0
	v_mul_lo_u16_e32 v0, 0x51, v174
	v_sub_u16_e32 v175, v229, v0
	v_lshlrev_b16_e32 v0, 4, v175
	v_add_co_u32_e32 v0, vcc, s10, v0
	v_addc_co_u32_e32 v1, vcc, 0, v233, vcc
	global_load_dwordx4 v[84:87], v[0:1], off offset:624
	v_mul_f32_e32 v36, v16, v83
	v_fmac_f32_e32 v36, v17, v82
	v_mul_f32_e32 v34, v14, v81
	v_fmac_f32_e32 v34, v15, v80
	s_waitcnt vmcnt(0) lgkmcnt(4)
	v_mul_f32_e32 v0, v91, v85
	v_fma_f32 v37, v90, v84, -v0
	v_mul_f32_e32 v0, v19, v87
	v_fma_f32 v39, v18, v86, -v0
	v_mul_u32_u24_sdwa v0, v45, s4 dst_sel:DWORD dst_unused:UNUSED_PAD src0_sel:WORD_0 src1_sel:DWORD
	v_lshrrev_b32_e32 v177, 21, v0
	v_mul_lo_u16_e32 v0, 0x51, v177
	v_sub_u16_e32 v179, v45, v0
	v_lshlrev_b16_e32 v0, 4, v179
	v_add_co_u32_e32 v0, vcc, s10, v0
	v_addc_co_u32_e32 v1, vcc, 0, v233, vcc
	global_load_dwordx4 v[60:63], v[0:1], off offset:624
	v_mul_f32_e32 v38, v90, v85
	v_mul_f32_e32 v40, v18, v87
	v_fmac_f32_e32 v40, v19, v86
	v_fmac_f32_e32 v38, v91, v84
	v_mov_b32_e32 v91, v188
	v_mov_b32_e32 v249, v91
	;; [unrolled: 1-line block ×3, first 2 shown]
	s_waitcnt vmcnt(0)
	v_mul_f32_e32 v0, v93, v61
	v_fma_f32 v41, v92, v60, -v0
	s_waitcnt lgkmcnt(2)
	v_mul_f32_e32 v0, v101, v63
	v_fma_f32 v43, v100, v62, -v0
	v_mul_u32_u24_sdwa v0, v228, s4 dst_sel:DWORD dst_unused:UNUSED_PAD src0_sel:WORD_0 src1_sel:DWORD
	v_lshrrev_b32_e32 v171, 21, v0
	v_mul_lo_u16_e32 v0, 0x51, v171
	v_sub_u16_e32 v173, v228, v0
	v_lshlrev_b16_e32 v0, 4, v173
	v_add_co_u32_e32 v0, vcc, s10, v0
	v_mul_f32_e32 v42, v92, v61
	v_addc_co_u32_e32 v1, vcc, 0, v233, vcc
	v_fmac_f32_e32 v42, v93, v60
	global_load_dwordx4 v[92:95], v[0:1], off offset:624
	v_mul_f32_e32 v44, v100, v63
	v_fmac_f32_e32 v44, v101, v62
	s_waitcnt vmcnt(0) lgkmcnt(1)
	v_mul_f32_e32 v0, v165, v93
	v_fma_f32 v46, v164, v92, -v0
	v_mul_f32_e32 v0, v103, v95
	v_fma_f32 v48, v102, v94, -v0
	v_mul_u32_u24_sdwa v0, v232, s4 dst_sel:DWORD dst_unused:UNUSED_PAD src0_sel:WORD_0 src1_sel:DWORD
	v_lshrrev_b32_e32 v170, 21, v0
	v_mul_lo_u16_e32 v0, 0x51, v170
	v_sub_u16_e32 v172, v232, v0
	v_lshlrev_b16_e32 v0, 4, v172
	v_add_co_u32_e32 v0, vcc, s10, v0
	v_mul_f32_e32 v49, v102, v95
	v_addc_co_u32_e32 v1, vcc, 0, v233, vcc
	v_fmac_f32_e32 v49, v103, v94
	global_load_dwordx4 v[100:103], v[0:1], off offset:624
	v_mul_f32_e32 v47, v164, v93
	v_fmac_f32_e32 v47, v165, v92
	s_waitcnt vmcnt(0) lgkmcnt(0)
	s_barrier
	s_movk_i32 s4, 0xdb3
	v_mul_f32_e32 v0, v167, v101
	v_fma_f32 v50, v166, v100, -v0
	v_mul_f32_e32 v0, v23, v103
	v_fma_f32 v89, v22, v102, -v0
	v_add_f32_e32 v0, v160, v27
	v_mul_f32_e32 v90, v22, v103
	v_add_f32_e32 v22, v0, v28
	v_add_f32_e32 v0, v27, v28
	v_fma_f32 v24, -0.5, v0, v160
	v_sub_f32_e32 v0, v25, v29
	v_mov_b32_e32 v26, v24
	v_fmac_f32_e32 v26, 0x3f5db3d7, v0
	v_fmac_f32_e32 v24, 0xbf5db3d7, v0
	v_add_f32_e32 v0, v161, v25
	v_fmac_f32_e32 v90, v23, v102
	v_add_f32_e32 v23, v0, v29
	v_add_f32_e32 v0, v25, v29
	v_fma_f32 v25, -0.5, v0, v161
	v_sub_f32_e32 v0, v27, v28
	v_mov_b32_e32 v27, v25
	v_fmac_f32_e32 v27, 0xbf5db3d7, v0
	v_fmac_f32_e32 v25, 0x3f5db3d7, v0
	v_add_f32_e32 v0, v162, v31
	v_add_f32_e32 v28, v0, v5
	;; [unrolled: 1-line block ×3, first 2 shown]
	v_fma_f32 v162, -0.5, v0, v162
	v_sub_f32_e32 v0, v4, v2
	v_mov_b32_e32 v30, v162
	v_fmac_f32_e32 v30, 0x3f5db3d7, v0
	v_fmac_f32_e32 v162, 0xbf5db3d7, v0
	v_add_f32_e32 v0, v163, v4
	v_add_f32_e32 v29, v0, v2
	;; [unrolled: 1-line block ×3, first 2 shown]
	v_fmac_f32_e32 v163, -0.5, v0
	v_sub_f32_e32 v0, v31, v5
	v_mov_b32_e32 v31, v163
	v_fmac_f32_e32 v31, 0xbf5db3d7, v0
	v_fmac_f32_e32 v163, 0x3f5db3d7, v0
	v_add_f32_e32 v0, v156, v3
	v_add_f32_e32 v18, v0, v7
	v_add_f32_e32 v0, v3, v7
	v_fma_f32 v16, -0.5, v0, v156
	v_sub_f32_e32 v0, v6, v8
	v_mov_b32_e32 v168, v16
	v_fmac_f32_e32 v168, 0x3f5db3d7, v0
	v_fmac_f32_e32 v16, 0xbf5db3d7, v0
	v_add_f32_e32 v0, v157, v6
	v_add_f32_e32 v19, v0, v8
	v_add_f32_e32 v0, v6, v8
	v_fma_f32 v17, -0.5, v0, v157
	;; [unrolled: 8-line block ×3, first 2 shown]
	v_sub_f32_e32 v0, v32, v10
	v_mov_b32_e32 v14, v158
	v_fmac_f32_e32 v14, 0x3f5db3d7, v0
	v_fmac_f32_e32 v158, 0xbf5db3d7, v0
	v_add_f32_e32 v0, v159, v32
	v_add_f32_e32 v13, v0, v10
	;; [unrolled: 1-line block ×3, first 2 shown]
	v_fmac_f32_e32 v159, -0.5, v0
	v_sub_f32_e32 v0, v9, v33
	v_mov_b32_e32 v15, v159
	v_fmac_f32_e32 v15, 0xbf5db3d7, v0
	v_fmac_f32_e32 v159, 0x3f5db3d7, v0
	v_add_f32_e32 v0, v152, v11
	v_add_f32_e32 v164, v0, v35
	;; [unrolled: 1-line block ×3, first 2 shown]
	v_fma_f32 v160, -0.5, v0, v152
	v_mul_f32_e32 v51, v166, v101
	v_sub_f32_e32 v0, v34, v36
	v_mov_b32_e32 v166, v160
	v_fmac_f32_e32 v166, 0x3f5db3d7, v0
	v_fmac_f32_e32 v160, 0xbf5db3d7, v0
	v_add_f32_e32 v0, v153, v34
	v_add_f32_e32 v165, v0, v36
	;; [unrolled: 1-line block ×3, first 2 shown]
	v_fma_f32 v161, -0.5, v0, v153
	v_fmac_f32_e32 v51, v167, v100
	v_sub_f32_e32 v0, v11, v35
	v_mov_b32_e32 v167, v161
	v_fmac_f32_e32 v167, 0xbf5db3d7, v0
	v_fmac_f32_e32 v161, 0x3f5db3d7, v0
	v_add_f32_e32 v0, v154, v37
	v_add_f32_e32 v152, v0, v39
	;; [unrolled: 1-line block ×3, first 2 shown]
	v_fma_f32 v154, -0.5, v0, v154
	v_sub_f32_e32 v0, v38, v40
	v_mov_b32_e32 v156, v154
	v_fmac_f32_e32 v156, 0x3f5db3d7, v0
	v_fmac_f32_e32 v154, 0xbf5db3d7, v0
	v_add_f32_e32 v0, v155, v38
	v_add_f32_e32 v153, v0, v40
	;; [unrolled: 1-line block ×3, first 2 shown]
	v_fmac_f32_e32 v155, -0.5, v0
	v_sub_f32_e32 v0, v37, v39
	v_mov_b32_e32 v157, v155
	v_fmac_f32_e32 v157, 0xbf5db3d7, v0
	v_fmac_f32_e32 v155, 0x3f5db3d7, v0
	v_add_f32_e32 v0, v140, v41
	v_add_f32_e32 v10, v0, v43
	v_add_f32_e32 v0, v41, v43
	v_fma_f32 v8, -0.5, v0, v140
	v_sub_f32_e32 v0, v42, v44
	v_mov_b32_e32 v122, v8
	v_fmac_f32_e32 v122, 0x3f5db3d7, v0
	v_fmac_f32_e32 v8, 0xbf5db3d7, v0
	v_add_f32_e32 v0, v141, v42
	v_add_f32_e32 v11, v0, v44
	v_add_f32_e32 v0, v42, v44
	v_fma_f32 v9, -0.5, v0, v141
	;; [unrolled: 8-line block ×3, first 2 shown]
	v_sub_f32_e32 v0, v47, v49
	v_mov_b32_e32 v6, v142
	v_fmac_f32_e32 v6, 0x3f5db3d7, v0
	v_fmac_f32_e32 v142, 0xbf5db3d7, v0
	v_add_f32_e32 v0, v143, v47
	v_add_f32_e32 v5, v0, v49
	;; [unrolled: 1-line block ×3, first 2 shown]
	v_fmac_f32_e32 v143, -0.5, v0
	v_sub_f32_e32 v0, v46, v48
	v_mov_b32_e32 v7, v143
	v_add_f32_e32 v1, v50, v89
	v_fmac_f32_e32 v7, 0xbf5db3d7, v0
	v_fmac_f32_e32 v143, 0x3f5db3d7, v0
	v_add_f32_e32 v0, v120, v50
	v_fma_f32 v120, -0.5, v1, v120
	v_sub_f32_e32 v1, v51, v90
	v_mov_b32_e32 v2, v120
	v_add_f32_e32 v3, v51, v90
	v_fmac_f32_e32 v2, 0x3f5db3d7, v1
	v_fmac_f32_e32 v120, 0xbf5db3d7, v1
	v_add_f32_e32 v1, v121, v51
	v_fmac_f32_e32 v121, -0.5, v3
	v_sub_f32_e32 v32, v50, v89
	v_mov_b32_e32 v3, v121
	v_fmac_f32_e32 v3, 0xbf5db3d7, v32
	v_fmac_f32_e32 v121, 0x3f5db3d7, v32
	v_mul_u32_u24_e32 v32, 0xf3, v186
	v_add_lshl_u32 v32, v32, v187, 3
	buffer_store_dword v32, off, s[24:27], 0 offset:588 ; 4-byte Folded Spill
	ds_write2_b64 v32, v[22:23], v[26:27] offset1:81
	ds_write_b64 v32, v[24:25] offset:1296
	v_mad_legacy_u16 v22, v182, s16, v184
	v_lshlrev_b32_e32 v22, 3, v22
	buffer_store_dword v22, off, s[24:27], 0 offset:552 ; 4-byte Folded Spill
	ds_write2_b64 v22, v[28:29], v[30:31] offset1:81
	ds_write_b64 v22, v[162:163] offset:1296
	v_mad_legacy_u16 v22, v183, s16, v185
	v_lshlrev_b32_e32 v22, 3, v22
	;; [unrolled: 5-line block ×7, first 2 shown]
	buffer_store_dword v8, off, s[24:27], 0 offset:596 ; 4-byte Folded Spill
	ds_write2_b64 v8, v[4:5], v[6:7] offset1:81
	ds_write_b64 v8, v[142:143] offset:1296
	v_mad_legacy_u16 v4, v170, s16, v172
	v_add_f32_e32 v0, v0, v89
	v_add_f32_e32 v1, v1, v90
	v_lshlrev_b32_e32 v4, 3, v4
	buffer_store_dword v4, off, s[24:27], 0 offset:604 ; 4-byte Folded Spill
	ds_write2_b64 v4, v[0:1], v[2:3] offset1:81
	ds_write_b64 v4, v[120:121] offset:1296
	v_lshlrev_b32_e32 v0, 4, v200
	s_waitcnt vmcnt(0) lgkmcnt(0)
	s_barrier
	ds_read2_b64 v[192:195], v88 offset1:243
	ds_read2_b64 v[176:179], v247 offset0:8 offset1:251
	ds_read2_b64 v[1:4], v188 offset0:6 offset1:249
	;; [unrolled: 1-line block ×7, first 2 shown]
	v_mov_b32_e32 v46, v197
	ds_read2_b64 v[162:165], v197 offset0:2 offset1:245
	ds_read2_b64 v[166:169], v248 offset0:10 offset1:253
	;; [unrolled: 1-line block ×3, first 2 shown]
	v_mov_b32_e32 v89, v199
	v_mov_b32_e32 v27, v196
	ds_read2_b64 v[170:173], v196 offset0:8 offset1:251
	ds_read2_b64 v[196:199], v250 offset1:243
	ds_read_b64 v[9:10], v88 offset:50544
	global_load_dwordx4 v[120:123], v0, s[10:11] offset:1920
	v_add_co_u32_e32 v221, vcc, s10, v0
	v_addc_co_u32_e32 v51, vcc, 0, v233, vcc
	v_mul_u32_u24_sdwa v11, v230, s4 dst_sel:DWORD dst_unused:UNUSED_PAD src0_sel:WORD_0 src1_sel:DWORD
	v_sub_u16_sdwa v12, v230, v11 dst_sel:DWORD dst_unused:UNUSED_PAD src0_sel:DWORD src1_sel:WORD_1
	v_lshrrev_b16_e32 v12, 1, v12
	v_add_u16_sdwa v11, v12, v11 dst_sel:DWORD dst_unused:UNUSED_PAD src0_sel:DWORD src1_sel:WORD_1
	v_lshrrev_b16_e32 v11, 7, v11
	v_mul_lo_u16_e32 v11, 0xf3, v11
	s_waitcnt vmcnt(0) lgkmcnt(12)
	v_mul_f32_e32 v0, v179, v121
	s_waitcnt lgkmcnt(11)
	v_mul_f32_e32 v23, v1, v123
	v_fma_f32 v8, v178, v120, -v0
	v_mul_f32_e32 v0, v2, v123
	v_fmac_f32_e32 v23, v2, v122
	v_mul_f32_e32 v2, v4, v123
	v_fma_f32 v2, v3, v122, -v2
	v_mul_f32_e32 v3, v3, v123
	v_fmac_f32_e32 v3, v4, v122
	v_mul_u32_u24_sdwa v4, v225, s4 dst_sel:DWORD dst_unused:UNUSED_PAD src0_sel:WORD_0 src1_sel:DWORD
	v_sub_u16_sdwa v5, v225, v4 dst_sel:DWORD dst_unused:UNUSED_PAD src0_sel:DWORD src1_sel:WORD_1
	v_lshrrev_b16_e32 v5, 1, v5
	v_add_u16_sdwa v4, v5, v4 dst_sel:DWORD dst_unused:UNUSED_PAD src0_sel:DWORD src1_sel:WORD_1
	v_lshrrev_b16_e32 v4, 7, v4
	v_fma_f32 v22, v1, v122, -v0
	s_waitcnt lgkmcnt(10)
	v_mul_f32_e32 v0, v15, v121
	v_mul_lo_u16_e32 v4, 0xf3, v4
	v_fma_f32 v0, v14, v120, -v0
	v_mul_f32_e32 v1, v14, v121
	v_sub_u16_e32 v14, v225, v4
	v_lshlrev_b16_e32 v4, 4, v14
	v_add_co_u32_e32 v4, vcc, s10, v4
	v_addc_co_u32_e32 v5, vcc, 0, v233, vcc
	global_load_dwordx4 v[140:143], v[4:5], off offset:1920
	v_fmac_f32_e32 v1, v15, v120
	v_sub_u16_e32 v15, v230, v11
	v_lshlrev_b16_e32 v11, 4, v15
	v_add_co_u32_e32 v11, vcc, s10, v11
	v_addc_co_u32_e32 v12, vcc, 0, v233, vcc
	v_mul_f32_e32 v13, v178, v121
	v_fmac_f32_e32 v13, v179, v120
	s_waitcnt vmcnt(0) lgkmcnt(8)
	v_mul_f32_e32 v6, v155, v143
	v_mul_f32_e32 v7, v154, v143
	v_fma_f32 v6, v154, v142, -v6
	v_fmac_f32_e32 v7, v155, v142
	global_load_dwordx4 v[152:155], v[11:12], off offset:1920
	v_mul_f32_e32 v4, v17, v141
	v_fma_f32 v4, v16, v140, -v4
	v_mul_f32_e32 v5, v16, v141
	v_fmac_f32_e32 v5, v17, v140
	s_waitcnt vmcnt(0) lgkmcnt(7)
	v_mul_f32_e32 v11, v159, v153
	v_fma_f32 v24, v158, v152, -v11
	v_mul_f32_e32 v11, v157, v155
	v_fma_f32 v26, v156, v154, -v11
	v_mul_u32_u24_sdwa v11, v231, s4 dst_sel:DWORD dst_unused:UNUSED_PAD src0_sel:WORD_0 src1_sel:DWORD
	v_sub_u16_sdwa v12, v231, v11 dst_sel:DWORD dst_unused:UNUSED_PAD src0_sel:DWORD src1_sel:WORD_1
	v_lshrrev_b16_e32 v12, 1, v12
	v_add_u16_sdwa v11, v12, v11 dst_sel:DWORD dst_unused:UNUSED_PAD src0_sel:DWORD src1_sel:WORD_1
	v_lshrrev_b16_e32 v11, 7, v11
	v_mul_lo_u16_e32 v11, 0xf3, v11
	v_sub_u16_e32 v16, v231, v11
	v_lshlrev_b16_e32 v11, 4, v16
	v_add_co_u32_e32 v11, vcc, s10, v11
	v_mul_f32_e32 v25, v158, v153
	v_mul_f32_e32 v28, v156, v155
	v_addc_co_u32_e32 v12, vcc, 0, v233, vcc
	v_fmac_f32_e32 v25, v159, v152
	v_fmac_f32_e32 v28, v157, v154
	global_load_dwordx4 v[156:159], v[11:12], off offset:1920
	s_waitcnt vmcnt(0)
	v_mul_f32_e32 v11, v161, v157
	v_fma_f32 v29, v160, v156, -v11
	s_waitcnt lgkmcnt(5)
	v_mul_f32_e32 v11, v163, v159
	v_fma_f32 v31, v162, v158, -v11
	v_mul_u32_u24_sdwa v11, v229, s4 dst_sel:DWORD dst_unused:UNUSED_PAD src0_sel:WORD_0 src1_sel:DWORD
	v_sub_u16_sdwa v12, v229, v11 dst_sel:DWORD dst_unused:UNUSED_PAD src0_sel:DWORD src1_sel:WORD_1
	v_lshrrev_b16_e32 v12, 1, v12
	v_add_u16_sdwa v11, v12, v11 dst_sel:DWORD dst_unused:UNUSED_PAD src0_sel:DWORD src1_sel:WORD_1
	v_lshrrev_b16_e32 v11, 7, v11
	v_mul_lo_u16_e32 v11, 0xf3, v11
	v_sub_u16_e32 v17, v229, v11
	v_lshlrev_b16_e32 v11, 4, v17
	v_add_co_u32_e32 v11, vcc, s10, v11
	v_mul_f32_e32 v30, v160, v157
	v_mul_f32_e32 v32, v162, v159
	v_addc_co_u32_e32 v12, vcc, 0, v233, vcc
	v_fmac_f32_e32 v30, v161, v156
	v_fmac_f32_e32 v32, v163, v158
	global_load_dwordx4 v[160:163], v[11:12], off offset:1920
	s_waitcnt vmcnt(0) lgkmcnt(4)
	v_mul_f32_e32 v11, v167, v161
	v_fma_f32 v33, v166, v160, -v11
	v_mul_f32_e32 v11, v165, v163
	v_fma_f32 v35, v164, v162, -v11
	v_mul_u32_u24_sdwa v11, v45, s4 dst_sel:DWORD dst_unused:UNUSED_PAD src0_sel:WORD_0 src1_sel:DWORD
	v_sub_u16_sdwa v12, v45, v11 dst_sel:DWORD dst_unused:UNUSED_PAD src0_sel:DWORD src1_sel:WORD_1
	v_lshrrev_b16_e32 v12, 1, v12
	v_add_u16_sdwa v11, v12, v11 dst_sel:DWORD dst_unused:UNUSED_PAD src0_sel:DWORD src1_sel:WORD_1
	v_lshrrev_b16_e32 v11, 7, v11
	v_mul_lo_u16_e32 v11, 0xf3, v11
	v_sub_u16_e32 v18, v45, v11
	v_lshlrev_b16_e32 v11, 4, v18
	v_add_co_u32_e32 v11, vcc, s10, v11
	v_mul_f32_e32 v34, v166, v161
	v_mul_f32_e32 v36, v164, v163
	v_addc_co_u32_e32 v12, vcc, 0, v233, vcc
	v_fmac_f32_e32 v34, v167, v160
	v_fmac_f32_e32 v36, v165, v162
	global_load_dwordx4 v[164:167], v[11:12], off offset:1920
	s_waitcnt vmcnt(0)
	v_mul_f32_e32 v11, v169, v165
	v_fma_f32 v37, v168, v164, -v11
	s_waitcnt lgkmcnt(2)
	v_mul_f32_e32 v11, v171, v167
	v_fma_f32 v39, v170, v166, -v11
	v_mul_u32_u24_sdwa v11, v228, s4 dst_sel:DWORD dst_unused:UNUSED_PAD src0_sel:WORD_0 src1_sel:DWORD
	v_sub_u16_sdwa v12, v228, v11 dst_sel:DWORD dst_unused:UNUSED_PAD src0_sel:DWORD src1_sel:WORD_1
	v_lshrrev_b16_e32 v12, 1, v12
	v_add_u16_sdwa v11, v12, v11 dst_sel:DWORD dst_unused:UNUSED_PAD src0_sel:DWORD src1_sel:WORD_1
	v_lshrrev_b16_e32 v11, 7, v11
	v_mul_lo_u16_e32 v11, 0xf3, v11
	v_sub_u16_e32 v19, v228, v11
	v_lshlrev_b16_e32 v11, 4, v19
	v_add_co_u32_e32 v11, vcc, s10, v11
	v_mul_f32_e32 v38, v168, v165
	v_mul_f32_e32 v40, v170, v167
	v_addc_co_u32_e32 v12, vcc, 0, v233, vcc
	v_fmac_f32_e32 v38, v169, v164
	v_fmac_f32_e32 v40, v171, v166
	global_load_dwordx4 v[168:171], v[11:12], off offset:1920
	s_waitcnt vmcnt(0) lgkmcnt(1)
	v_mul_f32_e32 v11, v197, v169
	v_fma_f32 v41, v196, v168, -v11
	v_mul_f32_e32 v11, v173, v171
	v_fma_f32 v43, v172, v170, -v11
	v_mul_u32_u24_sdwa v11, v232, s4 dst_sel:DWORD dst_unused:UNUSED_PAD src0_sel:WORD_0 src1_sel:DWORD
	v_sub_u16_sdwa v12, v232, v11 dst_sel:DWORD dst_unused:UNUSED_PAD src0_sel:DWORD src1_sel:WORD_1
	v_lshrrev_b16_e32 v12, 1, v12
	v_add_u16_sdwa v11, v12, v11 dst_sel:DWORD dst_unused:UNUSED_PAD src0_sel:DWORD src1_sel:WORD_1
	v_lshrrev_b16_e32 v11, 7, v11
	v_mul_lo_u16_e32 v11, 0xf3, v11
	v_sub_u16_e32 v214, v232, v11
	v_lshlrev_b16_e32 v11, 4, v214
	v_add_co_u32_e32 v11, vcc, s10, v11
	v_mul_f32_e32 v44, v172, v171
	v_addc_co_u32_e32 v12, vcc, 0, v233, vcc
	v_fmac_f32_e32 v44, v173, v170
	global_load_dwordx4 v[172:175], v[11:12], off offset:1920
	v_mul_f32_e32 v42, v196, v169
	v_fmac_f32_e32 v42, v197, v168
	s_waitcnt vmcnt(0) lgkmcnt(0)
	s_barrier
	s_movk_i32 s4, 0x6799
	v_mul_f32_e32 v11, v199, v173
	v_fma_f32 v47, v198, v172, -v11
	v_mul_f32_e32 v11, v10, v175
	v_fma_f32 v49, v9, v174, -v11
	v_mul_f32_e32 v50, v9, v175
	v_add_f32_e32 v9, v192, v8
	v_add_f32_e32 v210, v9, v22
	v_add_f32_e32 v9, v8, v22
	v_fma_f32 v208, -0.5, v9, v192
	v_sub_f32_e32 v9, v13, v23
	v_mov_b32_e32 v212, v208
	v_fmac_f32_e32 v212, 0x3f5db3d7, v9
	v_fmac_f32_e32 v208, 0xbf5db3d7, v9
	v_add_f32_e32 v9, v193, v13
	v_add_f32_e32 v211, v9, v23
	v_add_f32_e32 v9, v13, v23
	v_fma_f32 v209, -0.5, v9, v193
	v_sub_f32_e32 v8, v8, v22
	v_mov_b32_e32 v213, v209
	v_fmac_f32_e32 v213, 0xbf5db3d7, v8
	v_fmac_f32_e32 v209, 0x3f5db3d7, v8
	;; [unrolled: 8-line block ×3, first 2 shown]
	v_add_f32_e32 v8, v195, v1
	v_add_f32_e32 v1, v1, v3
	v_fmac_f32_e32 v195, -0.5, v1
	v_sub_f32_e32 v0, v0, v2
	v_mov_b32_e32 v23, v195
	v_fmac_f32_e32 v23, 0xbf5db3d7, v0
	v_fmac_f32_e32 v195, 0x3f5db3d7, v0
	v_add_f32_e32 v0, v188, v4
	v_fmac_f32_e32 v50, v10, v174
	v_add_f32_e32 v10, v0, v6
	v_add_f32_e32 v0, v4, v6
	v_fma_f32 v204, -0.5, v0, v188
	v_sub_f32_e32 v0, v5, v7
	v_mov_b32_e32 v206, v204
	v_fmac_f32_e32 v206, 0x3f5db3d7, v0
	v_fmac_f32_e32 v204, 0xbf5db3d7, v0
	v_add_f32_e32 v0, v189, v5
	v_add_f32_e32 v11, v0, v7
	;; [unrolled: 1-line block ×3, first 2 shown]
	v_fma_f32 v205, -0.5, v0, v189
	v_sub_f32_e32 v0, v4, v6
	v_mov_b32_e32 v207, v205
	v_fmac_f32_e32 v207, 0xbf5db3d7, v0
	v_fmac_f32_e32 v205, 0x3f5db3d7, v0
	v_add_f32_e32 v0, v190, v24
	v_add_f32_e32 v6, v0, v26
	;; [unrolled: 1-line block ×3, first 2 shown]
	v_fma_f32 v190, -0.5, v0, v190
	v_add_f32_e32 v13, v8, v3
	v_sub_f32_e32 v0, v25, v28
	v_mov_b32_e32 v8, v190
	v_fmac_f32_e32 v8, 0x3f5db3d7, v0
	v_fmac_f32_e32 v190, 0xbf5db3d7, v0
	v_add_f32_e32 v0, v191, v25
	v_add_f32_e32 v3, v30, v32
	;; [unrolled: 1-line block ×4, first 2 shown]
	v_fma_f32 v3, -0.5, v3, v185
	v_fmac_f32_e32 v191, -0.5, v0
	v_sub_f32_e32 v0, v24, v26
	v_sub_f32_e32 v24, v29, v31
	v_mov_b32_e32 v5, v3
	v_fmac_f32_e32 v5, 0xbf5db3d7, v24
	v_fmac_f32_e32 v3, 0x3f5db3d7, v24
	v_add_f32_e32 v24, v186, v33
	v_add_f32_e32 v200, v24, v35
	;; [unrolled: 1-line block ×3, first 2 shown]
	v_fma_f32 v186, -0.5, v24, v186
	v_sub_f32_e32 v24, v34, v36
	v_mov_b32_e32 v202, v186
	v_fmac_f32_e32 v202, 0x3f5db3d7, v24
	v_fmac_f32_e32 v186, 0xbf5db3d7, v24
	v_add_f32_e32 v24, v187, v34
	v_add_f32_e32 v201, v24, v36
	;; [unrolled: 1-line block ×3, first 2 shown]
	v_fmac_f32_e32 v187, -0.5, v24
	v_sub_f32_e32 v24, v33, v35
	v_mov_b32_e32 v203, v187
	v_fmac_f32_e32 v203, 0xbf5db3d7, v24
	v_fmac_f32_e32 v187, 0x3f5db3d7, v24
	v_add_f32_e32 v24, v180, v37
	v_add_f32_e32 v192, v24, v39
	;; [unrolled: 1-line block ×3, first 2 shown]
	v_fma_f32 v196, -0.5, v24, v180
	v_mul_f32_e32 v48, v198, v173
	v_sub_f32_e32 v24, v38, v40
	v_mov_b32_e32 v198, v196
	v_fmac_f32_e32 v198, 0x3f5db3d7, v24
	v_fmac_f32_e32 v196, 0xbf5db3d7, v24
	v_add_f32_e32 v24, v181, v38
	v_add_f32_e32 v193, v24, v40
	;; [unrolled: 1-line block ×3, first 2 shown]
	v_fma_f32 v197, -0.5, v24, v181
	v_fmac_f32_e32 v48, v199, v172
	v_sub_f32_e32 v24, v37, v39
	v_mov_b32_e32 v199, v197
	v_mov_b32_e32 v9, v191
	v_add_f32_e32 v1, v29, v31
	v_fmac_f32_e32 v199, 0xbf5db3d7, v24
	v_fmac_f32_e32 v197, 0x3f5db3d7, v24
	v_add_f32_e32 v24, v182, v41
	v_fmac_f32_e32 v9, 0xbf5db3d7, v0
	v_fmac_f32_e32 v191, 0x3f5db3d7, v0
	v_add_f32_e32 v0, v184, v29
	v_fma_f32 v2, -0.5, v1, v184
	v_add_f32_e32 v184, v24, v43
	v_add_f32_e32 v24, v41, v43
	v_fma_f32 v182, -0.5, v24, v182
	v_sub_f32_e32 v24, v42, v44
	v_mov_b32_e32 v188, v182
	ds_write2_b64 v88, v[210:211], v[212:213] offset1:243
	ds_write2_b64 v246, v[208:209], v[12:13] offset0:6 offset1:249
	ds_write2_b64 v245, v[22:23], v[194:195] offset0:12 offset1:255
	v_lshlrev_b32_e32 v12, 3, v14
	v_sub_f32_e32 v1, v30, v32
	v_mov_b32_e32 v4, v2
	v_fmac_f32_e32 v188, 0x3f5db3d7, v24
	v_fmac_f32_e32 v182, 0xbf5db3d7, v24
	v_add_f32_e32 v24, v183, v42
	v_add_u32_e32 v13, 0x2d80, v12
	v_fmac_f32_e32 v4, 0x3f5db3d7, v1
	v_fmac_f32_e32 v2, 0xbf5db3d7, v1
	v_add_f32_e32 v1, v185, v30
	v_add_f32_e32 v185, v24, v44
	;; [unrolled: 1-line block ×3, first 2 shown]
	buffer_store_dword v12, off, s[24:27], 0 offset:632 ; 4-byte Folded Spill
	buffer_store_dword v13, off, s[24:27], 0 offset:636 ; 4-byte Folded Spill
	ds_write2_b64 v13, v[10:11], v[206:207] offset0:2 offset1:245
	ds_write_b64 v12, v[204:205] offset:15552
	v_lshlrev_b32_e32 v10, 3, v15
	v_fmac_f32_e32 v183, -0.5, v24
	v_add_u32_e32 v11, 0x4400, v10
	v_sub_f32_e32 v24, v41, v43
	v_mov_b32_e32 v189, v183
	buffer_store_dword v10, off, s[24:27], 0 offset:644 ; 4-byte Folded Spill
	buffer_store_dword v11, off, s[24:27], 0 offset:640 ; 4-byte Folded Spill
	ds_write2_b64 v11, v[6:7], v[8:9] offset0:11 offset1:254
	ds_write_b64 v10, v[190:191] offset:21384
	v_lshlrev_b32_e32 v6, 3, v16
	v_add_f32_e32 v0, v0, v31
	v_add_f32_e32 v1, v1, v32
	v_fmac_f32_e32 v189, 0xbf5db3d7, v24
	v_fmac_f32_e32 v183, 0x3f5db3d7, v24
	v_add_f32_e32 v24, v176, v47
	v_add_u32_e32 v7, 0x5b00, v6
	v_add_f32_e32 v178, v24, v49
	v_add_f32_e32 v24, v47, v49
	buffer_store_dword v6, off, s[24:27], 0 offset:648 ; 4-byte Folded Spill
	buffer_store_dword v7, off, s[24:27], 0 offset:652 ; 4-byte Folded Spill
	ds_write2_b64 v7, v[0:1], v[4:5] offset0:4 offset1:247
	ds_write_b64 v6, v[2:3] offset:27216
	v_lshlrev_b32_e32 v0, 3, v17
	v_fma_f32 v176, -0.5, v24, v176
	v_add_u32_e32 v1, 0x71c0, v0
	v_sub_f32_e32 v24, v48, v50
	v_mov_b32_e32 v180, v176
	buffer_store_dword v0, off, s[24:27], 0 offset:660 ; 4-byte Folded Spill
	buffer_store_dword v1, off, s[24:27], 0 offset:656 ; 4-byte Folded Spill
	ds_write2_b64 v1, v[200:201], v[202:203] offset0:5 offset1:248
	ds_write_b64 v0, v[186:187] offset:33048
	v_lshlrev_b32_e32 v0, 3, v18
	v_fmac_f32_e32 v180, 0x3f5db3d7, v24
	v_fmac_f32_e32 v176, 0xbf5db3d7, v24
	v_add_f32_e32 v24, v177, v48
	v_add_u32_e32 v1, 0x8880, v0
	v_add_f32_e32 v179, v24, v50
	v_add_f32_e32 v24, v48, v50
	buffer_store_dword v0, off, s[24:27], 0 offset:664 ; 4-byte Folded Spill
	buffer_store_dword v1, off, s[24:27], 0 offset:668 ; 4-byte Folded Spill
	ds_write2_b64 v1, v[192:193], v[198:199] offset0:6 offset1:249
	ds_write_b64 v0, v[196:197] offset:38880
	v_lshlrev_b32_e32 v0, 3, v19
	v_fmac_f32_e32 v177, -0.5, v24
	v_add_u32_e32 v1, 0x9f40, v0
	v_sub_f32_e32 v24, v47, v49
	v_mov_b32_e32 v181, v177
	buffer_store_dword v0, off, s[24:27], 0 offset:676 ; 4-byte Folded Spill
	buffer_store_dword v1, off, s[24:27], 0 offset:672 ; 4-byte Folded Spill
	ds_write2_b64 v1, v[184:185], v[188:189] offset0:7 offset1:250
	ds_write_b64 v0, v[182:183] offset:44712
	v_lshlrev_b32_e32 v0, 3, v214
	v_add_co_u32_e32 v10, vcc, s3, v221
	v_fmac_f32_e32 v181, 0xbf5db3d7, v24
	v_fmac_f32_e32 v177, 0x3f5db3d7, v24
	v_add_u32_e32 v1, 0xb600, v0
	v_addc_co_u32_e32 v11, vcc, 0, v51, vcc
	buffer_store_dword v0, off, s[24:27], 0 offset:684 ; 4-byte Folded Spill
	buffer_store_dword v1, off, s[24:27], 0 offset:680 ; 4-byte Folded Spill
	ds_write2_b64 v1, v[178:179], v[180:181] offset0:8 offset1:251
	ds_write_b64 v0, v[176:177] offset:50544
	s_waitcnt vmcnt(0) lgkmcnt(0)
	s_barrier
	ds_read2_b64 v[216:219], v88 offset1:243
	ds_read2_b64 v[200:203], v247 offset0:8 offset1:251
	ds_read2_b64 v[0:3], v91 offset0:6 offset1:249
	;; [unrolled: 1-line block ×11, first 2 shown]
	ds_read2_b64 v[238:241], v250 offset1:243
	ds_read_b64 v[8:9], v88 offset:50544
	global_load_dwordx4 v[176:179], v[10:11], off offset:1712
	v_mov_b32_e32 v27, v221
	v_mov_b32_e32 v46, v51
	s_waitcnt vmcnt(0) lgkmcnt(12)
	v_mul_f32_e32 v10, v203, v177
	v_fma_f32 v15, v202, v176, -v10
	s_waitcnt lgkmcnt(11)
	v_mul_f32_e32 v10, v1, v179
	v_fma_f32 v22, v0, v178, -v10
	v_mul_f32_e32 v23, v0, v179
	v_lshlrev_b32_e32 v0, 4, v223
	v_add_co_u32_e32 v30, vcc, s10, v0
	v_addc_co_u32_e32 v26, vcc, 0, v233, vcc
	v_add_co_u32_e32 v0, vcc, s3, v30
	v_fmac_f32_e32 v23, v1, v178
	v_addc_co_u32_e32 v1, vcc, 0, v26, vcc
	global_load_dwordx4 v[180:183], v[0:1], off offset:1712
	s_waitcnt lgkmcnt(8)
	v_mul_f32_e32 v38, v18, v179
	v_fmac_f32_e32 v38, v19, v178
	s_waitcnt lgkmcnt(7)
	v_mul_f32_e32 v36, v188, v177
	v_fmac_f32_e32 v36, v189, v176
	v_mul_f32_e32 v13, v202, v177
	v_fmac_f32_e32 v13, v203, v176
	s_waitcnt vmcnt(0)
	v_mul_f32_e32 v0, v5, v181
	v_fma_f32 v24, v4, v180, -v0
	v_mul_f32_e32 v4, v4, v181
	v_mul_f32_e32 v0, v3, v183
	v_fmac_f32_e32 v4, v5, v180
	v_fma_f32 v5, v2, v182, -v0
	v_lshlrev_b32_e32 v0, 4, v225
	v_add_co_u32_e32 v28, vcc, s10, v0
	v_addc_co_u32_e32 v29, vcc, 0, v233, vcc
	v_add_co_u32_e32 v0, vcc, s3, v28
	v_addc_co_u32_e32 v1, vcc, 0, v29, vcc
	global_load_dwordx4 v[184:187], v[0:1], off offset:1712
	v_mul_f32_e32 v2, v2, v183
	v_fmac_f32_e32 v2, v3, v182
	v_mul_f32_e32 v39, v190, v181
	v_fmac_f32_e32 v39, v191, v180
	s_waitcnt lgkmcnt(5)
	v_mul_f32_e32 v41, v192, v183
	v_fmac_f32_e32 v41, v193, v182
	s_waitcnt vmcnt(0)
	v_mul_f32_e32 v0, v7, v185
	v_fma_f32 v3, v6, v184, -v0
	v_mul_f32_e32 v6, v6, v185
	v_mul_f32_e32 v0, v17, v187
	v_fmac_f32_e32 v6, v7, v184
	v_fma_f32 v7, v16, v186, -v0
	v_mul_f32_e32 v0, v189, v177
	v_fma_f32 v35, v188, v176, -v0
	v_mul_f32_e32 v0, v19, v179
	v_fma_f32 v37, v18, v178, -v0
	v_mul_f32_e32 v0, v191, v181
	v_fma_f32 v19, v190, v180, -v0
	v_mul_f32_e32 v0, v193, v183
	v_fma_f32 v40, v192, v182, -v0
	s_waitcnt lgkmcnt(4)
	v_mul_f32_e32 v0, v197, v185
	v_fma_f32 v42, v196, v184, -v0
	v_mul_f32_e32 v0, v195, v187
	v_fma_f32 v44, v194, v186, -v0
	v_mul_u32_u24_sdwa v0, v45, s4 dst_sel:DWORD dst_unused:UNUSED_PAD src0_sel:WORD_0 src1_sel:DWORD
	v_sub_u16_sdwa v1, v45, v0 dst_sel:DWORD dst_unused:UNUSED_PAD src0_sel:DWORD src1_sel:WORD_1
	v_lshrrev_b16_e32 v1, 1, v1
	v_add_u16_sdwa v0, v1, v0 dst_sel:DWORD dst_unused:UNUSED_PAD src0_sel:DWORD src1_sel:WORD_1
	v_lshrrev_b16_e32 v0, 9, v0
	v_mul_lo_u16_e32 v0, 0x2d9, v0
	v_mul_f32_e32 v32, v16, v187
	v_sub_u16_e32 v16, v45, v0
	v_lshlrev_b16_e32 v0, 4, v16
	v_add_co_u32_e32 v0, vcc, s10, v0
	v_addc_co_u32_e32 v1, vcc, 0, v233, vcc
	v_add_co_u32_e32 v0, vcc, s3, v0
	v_addc_co_u32_e32 v1, vcc, 0, v1, vcc
	global_load_dwordx4 v[188:191], v[0:1], off offset:1712
	v_mul_f32_e32 v47, v194, v187
	v_fmac_f32_e32 v47, v195, v186
	v_fmac_f32_e32 v32, v17, v186
	v_mul_f32_e32 v43, v196, v185
	v_fmac_f32_e32 v43, v197, v184
	s_waitcnt vmcnt(0)
	v_mul_f32_e32 v0, v199, v189
	v_fma_f32 v48, v198, v188, -v0
	s_waitcnt lgkmcnt(2)
	v_mul_f32_e32 v0, v235, v191
	v_fma_f32 v50, v234, v190, -v0
	v_mul_u32_u24_sdwa v0, v228, s4 dst_sel:DWORD dst_unused:UNUSED_PAD src0_sel:WORD_0 src1_sel:DWORD
	v_sub_u16_sdwa v1, v228, v0 dst_sel:DWORD dst_unused:UNUSED_PAD src0_sel:DWORD src1_sel:WORD_1
	v_lshrrev_b16_e32 v1, 1, v1
	v_add_u16_sdwa v0, v1, v0 dst_sel:DWORD dst_unused:UNUSED_PAD src0_sel:DWORD src1_sel:WORD_1
	v_lshrrev_b16_e32 v0, 9, v0
	v_mul_lo_u16_e32 v0, 0x2d9, v0
	v_sub_u16_e32 v18, v228, v0
	v_lshlrev_b16_e32 v0, 4, v18
	v_add_co_u32_e32 v0, vcc, s10, v0
	v_addc_co_u32_e32 v1, vcc, 0, v233, vcc
	v_add_co_u32_e32 v0, vcc, s3, v0
	v_addc_co_u32_e32 v1, vcc, 0, v1, vcc
	global_load_dwordx4 v[192:195], v[0:1], off offset:1712
	v_mul_f32_e32 v49, v198, v189
	v_fmac_f32_e32 v49, v199, v188
	v_mul_f32_e32 v51, v234, v191
	v_fmac_f32_e32 v51, v235, v190
	s_waitcnt vmcnt(0) lgkmcnt(1)
	v_mul_f32_e32 v0, v239, v193
	v_fma_f32 v89, v238, v192, -v0
	v_mul_f32_e32 v0, v237, v195
	v_fma_f32 v91, v236, v194, -v0
	v_mul_u32_u24_sdwa v0, v232, s4 dst_sel:DWORD dst_unused:UNUSED_PAD src0_sel:WORD_0 src1_sel:DWORD
	v_sub_u16_sdwa v1, v232, v0 dst_sel:DWORD dst_unused:UNUSED_PAD src0_sel:DWORD src1_sel:WORD_1
	v_lshrrev_b16_e32 v1, 1, v1
	v_add_u16_sdwa v0, v1, v0 dst_sel:DWORD dst_unused:UNUSED_PAD src0_sel:DWORD src1_sel:WORD_1
	v_lshrrev_b16_e32 v0, 9, v0
	v_mul_lo_u16_e32 v0, 0x2d9, v0
	v_sub_u16_e32 v17, v232, v0
	v_lshlrev_b16_e32 v0, 4, v17
	v_add_co_u32_e32 v0, vcc, s10, v0
	v_addc_co_u32_e32 v1, vcc, 0, v233, vcc
	v_add_co_u32_e32 v0, vcc, s3, v0
	v_addc_co_u32_e32 v1, vcc, 0, v1, vcc
	global_load_dwordx4 v[196:199], v[0:1], off offset:1712
	v_mul_f32_e32 v202, v236, v195
	v_mul_f32_e32 v90, v238, v193
	v_fmac_f32_e32 v90, v239, v192
	v_fmac_f32_e32 v202, v237, v194
	v_add_f32_e32 v1, v48, v50
	s_waitcnt vmcnt(0) lgkmcnt(0)
	s_barrier
	v_mul_f32_e32 v0, v241, v197
	v_fma_f32 v236, v240, v196, -v0
	v_mul_f32_e32 v0, v9, v199
	v_fma_f32 v238, v8, v198, -v0
	v_add_f32_e32 v0, v216, v15
	v_add_f32_e32 v10, v0, v22
	;; [unrolled: 1-line block ×3, first 2 shown]
	v_fma_f32 v12, -0.5, v0, v216
	v_sub_f32_e32 v0, v13, v23
	v_mov_b32_e32 v14, v12
	v_fmac_f32_e32 v14, 0x3f5db3d7, v0
	v_fmac_f32_e32 v12, 0xbf5db3d7, v0
	v_add_f32_e32 v0, v217, v13
	v_add_f32_e32 v11, v0, v23
	;; [unrolled: 1-line block ×3, first 2 shown]
	v_fma_f32 v13, -0.5, v0, v217
	v_sub_f32_e32 v0, v15, v22
	v_mov_b32_e32 v15, v13
	v_fmac_f32_e32 v15, 0xbf5db3d7, v0
	v_fmac_f32_e32 v13, 0x3f5db3d7, v0
	v_add_f32_e32 v0, v218, v24
	v_add_f32_e32 v22, v0, v5
	;; [unrolled: 1-line block ×3, first 2 shown]
	v_fma_f32 v218, -0.5, v0, v218
	v_mul_f32_e32 v239, v8, v199
	v_sub_f32_e32 v0, v4, v2
	v_mov_b32_e32 v8, v218
	v_fmac_f32_e32 v8, 0x3f5db3d7, v0
	v_fmac_f32_e32 v218, 0xbf5db3d7, v0
	v_add_f32_e32 v0, v219, v4
	v_add_f32_e32 v23, v0, v2
	;; [unrolled: 1-line block ×3, first 2 shown]
	v_fmac_f32_e32 v219, -0.5, v0
	v_fmac_f32_e32 v239, v9, v198
	v_sub_f32_e32 v0, v24, v5
	v_mov_b32_e32 v9, v219
	v_fmac_f32_e32 v9, 0xbf5db3d7, v0
	v_fmac_f32_e32 v219, 0x3f5db3d7, v0
	v_add_f32_e32 v0, v212, v3
	v_add_f32_e32 v24, v0, v7
	v_add_f32_e32 v0, v3, v7
	v_fma_f32 v31, -0.5, v0, v212
	v_sub_f32_e32 v0, v6, v32
	v_mov_b32_e32 v33, v31
	v_fmac_f32_e32 v33, 0x3f5db3d7, v0
	v_fmac_f32_e32 v31, 0xbf5db3d7, v0
	v_add_f32_e32 v0, v213, v6
	v_add_f32_e32 v25, v0, v32
	v_add_f32_e32 v0, v6, v32
	v_fma_f32 v32, -0.5, v0, v213
	;; [unrolled: 8-line block ×3, first 2 shown]
	v_sub_f32_e32 v0, v36, v38
	v_mov_b32_e32 v222, v214
	v_fmac_f32_e32 v222, 0x3f5db3d7, v0
	v_fmac_f32_e32 v214, 0xbf5db3d7, v0
	v_add_f32_e32 v0, v215, v36
	v_add_f32_e32 v221, v0, v38
	;; [unrolled: 1-line block ×3, first 2 shown]
	v_fmac_f32_e32 v215, -0.5, v0
	v_sub_f32_e32 v0, v35, v37
	v_mov_b32_e32 v223, v215
	v_fmac_f32_e32 v223, 0xbf5db3d7, v0
	v_fmac_f32_e32 v215, 0x3f5db3d7, v0
	v_add_f32_e32 v0, v208, v19
	v_add_f32_e32 v224, v0, v40
	;; [unrolled: 1-line block ×3, first 2 shown]
	v_fma_f32 v4, -0.5, v0, v208
	v_sub_f32_e32 v0, v39, v41
	v_mov_b32_e32 v226, v4
	v_fmac_f32_e32 v226, 0x3f5db3d7, v0
	v_fmac_f32_e32 v4, 0xbf5db3d7, v0
	v_add_f32_e32 v0, v209, v39
	v_add_f32_e32 v3, v49, v51
	v_add_f32_e32 v225, v0, v41
	v_add_f32_e32 v0, v39, v41
	v_fma_f32 v217, -0.5, v3, v205
	v_fma_f32 v5, -0.5, v0, v209
	v_sub_f32_e32 v0, v19, v40
	v_sub_f32_e32 v19, v48, v50
	v_mov_b32_e32 v3, v217
	v_fmac_f32_e32 v3, 0xbf5db3d7, v19
	v_fmac_f32_e32 v217, 0x3f5db3d7, v19
	v_add_f32_e32 v19, v206, v89
	v_add_f32_e32 v208, v19, v91
	;; [unrolled: 1-line block ×3, first 2 shown]
	v_mov_b32_e32 v227, v5
	v_fma_f32 v206, -0.5, v19, v206
	v_fmac_f32_e32 v227, 0xbf5db3d7, v0
	v_fmac_f32_e32 v5, 0x3f5db3d7, v0
	v_add_f32_e32 v0, v210, v42
	v_sub_f32_e32 v19, v90, v202
	v_mov_b32_e32 v212, v206
	v_add_f32_e32 v234, v0, v44
	v_add_f32_e32 v0, v42, v44
	v_fmac_f32_e32 v212, 0x3f5db3d7, v19
	v_fmac_f32_e32 v206, 0xbf5db3d7, v19
	v_add_f32_e32 v19, v207, v90
	v_fma_f32 v210, -0.5, v0, v210
	v_add_f32_e32 v209, v19, v202
	v_add_f32_e32 v19, v90, v202
	v_sub_f32_e32 v0, v43, v47
	v_mov_b32_e32 v6, v210
	v_fmac_f32_e32 v207, -0.5, v19
	v_fmac_f32_e32 v6, 0x3f5db3d7, v0
	v_fmac_f32_e32 v210, 0xbf5db3d7, v0
	v_add_f32_e32 v0, v211, v43
	v_sub_f32_e32 v19, v89, v91
	v_mov_b32_e32 v213, v207
	v_add_f32_e32 v235, v0, v47
	v_add_f32_e32 v0, v43, v47
	v_fmac_f32_e32 v213, 0xbf5db3d7, v19
	v_fmac_f32_e32 v207, 0x3f5db3d7, v19
	v_add_f32_e32 v19, v200, v236
	v_mul_f32_e32 v237, v240, v197
	v_fmac_f32_e32 v211, -0.5, v0
	v_add_f32_e32 v202, v19, v238
	v_add_f32_e32 v19, v236, v238
	v_fmac_f32_e32 v237, v241, v196
	v_sub_f32_e32 v0, v42, v44
	v_mov_b32_e32 v7, v211
	v_fma_f32 v216, -0.5, v1, v204
	v_fma_f32 v200, -0.5, v19, v200
	v_fmac_f32_e32 v7, 0xbf5db3d7, v0
	v_fmac_f32_e32 v211, 0x3f5db3d7, v0
	v_add_f32_e32 v0, v204, v48
	v_sub_f32_e32 v1, v49, v51
	v_mov_b32_e32 v2, v216
	v_sub_f32_e32 v19, v237, v239
	v_mov_b32_e32 v204, v200
	v_fmac_f32_e32 v2, 0x3f5db3d7, v1
	v_fmac_f32_e32 v216, 0xbf5db3d7, v1
	v_add_f32_e32 v1, v205, v49
	v_fmac_f32_e32 v204, 0x3f5db3d7, v19
	v_fmac_f32_e32 v200, 0xbf5db3d7, v19
	v_add_f32_e32 v19, v201, v237
	v_add_f32_e32 v0, v0, v50
	;; [unrolled: 1-line block ×5, first 2 shown]
	ds_write_b64 v88, v[14:15] offset:5832
	ds_write_b64 v88, v[12:13] offset:11664
	ds_write2_b64 v88, v[10:11], v[22:23] offset1:243
	ds_write_b64 v88, v[218:219] offset:13608
	ds_write_b64 v88, v[24:25] offset:3888
	ds_write2_b64 v245, v[8:9], v[33:34] offset0:12 offset1:255
	ds_write2_b64 v247, v[31:32], v[220:221] offset0:8 offset1:251
	;; [unrolled: 1-line block ×4, first 2 shown]
	ds_write2_b64 v250, v[4:5], v[210:211] offset1:243
	v_lshlrev_b32_e32 v4, 3, v16
	v_fmac_f32_e32 v201, -0.5, v19
	v_sub_f32_e32 v19, v236, v238
	ds_write2_b64 v248, v[6:7], v[214:215] offset0:10 offset1:253
	ds_write_b64 v4, v[0:1] offset:34992
	ds_write_b64 v4, v[2:3] offset:40824
	v_lshlrev_b32_e32 v0, 3, v18
	v_mov_b32_e32 v205, v201
	v_fmac_f32_e32 v201, 0x3f5db3d7, v19
	v_mov_b32_e32 v10, v245
	v_mov_b32_e32 v12, v248
	buffer_store_dword v4, off, s[24:27], 0 offset:696 ; 4-byte Folded Spill
	ds_write_b64 v4, v[216:217] offset:46656
	ds_write_b64 v0, v[208:209] offset:34992
	;; [unrolled: 1-line block ×3, first 2 shown]
	buffer_store_dword v0, off, s[24:27], 0 offset:700 ; 4-byte Folded Spill
	ds_write_b64 v0, v[206:207] offset:46656
	v_lshlrev_b32_e32 v0, 3, v17
	v_add_u32_e32 v8, 0xa700, v88
	v_fmac_f32_e32 v205, 0xbf5db3d7, v19
	v_mov_b32_e32 v31, v250
	ds_write_b64 v0, v[202:203] offset:34992
	ds_write_b64 v0, v[204:205] offset:40824
	buffer_store_dword v0, off, s[24:27], 0 offset:704 ; 4-byte Folded Spill
	ds_write_b64 v0, v[200:201] offset:46656
	s_waitcnt vmcnt(0) lgkmcnt(0)
	s_barrier
	ds_read2_b64 v[252:255], v88 offset1:243
	ds_read2_b64 v[236:239], v247 offset0:8 offset1:251
	ds_read2_b64 v[0:3], v249 offset0:6 offset1:249
	;; [unrolled: 1-line block ×7, first 2 shown]
	v_mov_b32_e32 v58, v10
	ds_read2_b64 v[224:227], v8 offset0:2 offset1:245
	ds_read2_b64 v[8:11], v12 offset0:10 offset1:253
	v_mov_b32_e32 v52, v12
	v_add_u32_e32 v12, 0x2d80, v88
	v_add_co_u32_e32 v33, vcc, s2, v27
	ds_read2_b64 v[240:243], v12 offset0:2 offset1:245
	v_add_u32_e32 v12, 0xb600, v88
	v_addc_co_u32_e32 v34, vcc, 0, v46, vcc
	ds_read2_b64 v[12:15], v12 offset0:8 offset1:251
	ds_read2_b64 v[22:25], v31 offset1:243
	global_load_dwordx4 v[200:203], v[33:34], off offset:1088
	v_mov_b32_e32 v57, v31
	ds_read_b64 v[31:32], v88 offset:50544
	s_waitcnt vmcnt(0) lgkmcnt(11)
	v_mul_f32_e32 v34, v1, v203
	v_fma_f32 v34, v0, v202, -v34
	v_mul_f32_e32 v35, v0, v203
	v_add_co_u32_e32 v0, vcc, s2, v30
	v_fmac_f32_e32 v35, v1, v202
	v_addc_co_u32_e32 v1, vcc, 0, v26, vcc
	global_load_dwordx4 v[204:207], v[0:1], off offset:1088
	v_mul_f32_e32 v27, v239, v201
	v_fma_f32 v27, v238, v200, -v27
	v_mul_f32_e32 v33, v238, v201
	v_fmac_f32_e32 v33, v239, v200
	s_waitcnt vmcnt(0) lgkmcnt(10)
	v_mul_f32_e32 v0, v5, v205
	v_fma_f32 v26, v4, v204, -v0
	v_mul_f32_e32 v4, v4, v205
	v_mul_f32_e32 v0, v3, v207
	v_fmac_f32_e32 v4, v5, v204
	v_fma_f32 v5, v2, v206, -v0
	v_add_co_u32_e32 v0, vcc, s2, v28
	v_addc_co_u32_e32 v1, vcc, 0, v29, vcc
	global_load_dwordx4 v[208:211], v[0:1], off offset:1088
	v_mul_f32_e32 v2, v2, v207
	v_fmac_f32_e32 v2, v3, v206
	s_waitcnt vmcnt(0)
	v_mul_f32_e32 v0, v7, v209
	v_fma_f32 v3, v6, v208, -v0
	v_mul_f32_e32 v6, v6, v209
	s_waitcnt lgkmcnt(8)
	v_mul_f32_e32 v0, v17, v211
	v_fmac_f32_e32 v6, v7, v208
	v_fma_f32 v7, v16, v210, -v0
	v_lshlrev_b32_e32 v0, 4, v230
	v_add_co_u32_e32 v0, vcc, s10, v0
	v_addc_co_u32_e32 v1, vcc, 0, v233, vcc
	v_add_co_u32_e32 v0, vcc, s2, v0
	v_addc_co_u32_e32 v1, vcc, 0, v1, vcc
	global_load_dwordx4 v[212:215], v[0:1], off offset:1088
	v_mul_f32_e32 v29, v16, v211
	v_fmac_f32_e32 v29, v17, v210
	s_waitcnt vmcnt(0) lgkmcnt(7)
	v_mul_f32_e32 v0, v221, v213
	v_fma_f32 v36, v220, v212, -v0
	v_mul_f32_e32 v0, v19, v215
	v_fma_f32 v38, v18, v214, -v0
	v_lshlrev_b32_e32 v0, 4, v231
	v_add_co_u32_e32 v0, vcc, s10, v0
	v_addc_co_u32_e32 v1, vcc, 0, v233, vcc
	v_add_co_u32_e32 v0, vcc, s2, v0
	v_addc_co_u32_e32 v1, vcc, 0, v1, vcc
	global_load_dwordx4 v[216:219], v[0:1], off offset:1088
	v_mul_f32_e32 v37, v220, v213
	v_fmac_f32_e32 v37, v221, v212
	v_mul_f32_e32 v39, v18, v215
	v_fmac_f32_e32 v39, v19, v214
	s_waitcnt vmcnt(0)
	v_mul_f32_e32 v0, v223, v217
	v_fma_f32 v40, v222, v216, -v0
	s_waitcnt lgkmcnt(5)
	v_mul_f32_e32 v0, v225, v219
	v_fma_f32 v42, v224, v218, -v0
	v_lshlrev_b32_e32 v0, 4, v229
	v_add_co_u32_e32 v0, vcc, s10, v0
	v_addc_co_u32_e32 v1, vcc, 0, v233, vcc
	v_add_co_u32_e32 v0, vcc, s2, v0
	v_mul_f32_e32 v41, v222, v217
	v_addc_co_u32_e32 v1, vcc, 0, v1, vcc
	v_fmac_f32_e32 v41, v223, v216
	global_load_dwordx4 v[220:223], v[0:1], off offset:1088
	v_mul_f32_e32 v43, v224, v219
	v_fmac_f32_e32 v43, v225, v218
	s_waitcnt vmcnt(0) lgkmcnt(4)
	v_mul_f32_e32 v0, v9, v221
	v_fma_f32 v44, v8, v220, -v0
	v_mul_f32_e32 v0, v227, v223
	v_fma_f32 v47, v226, v222, -v0
	v_lshlrev_b32_e32 v0, 4, v45
	v_add_co_u32_e32 v0, vcc, s10, v0
	v_addc_co_u32_e32 v1, vcc, 0, v233, vcc
	v_add_co_u32_e32 v0, vcc, s2, v0
	v_mul_f32_e32 v48, v226, v223
	v_addc_co_u32_e32 v1, vcc, 0, v1, vcc
	v_fmac_f32_e32 v48, v227, v222
	global_load_dwordx4 v[224:227], v[0:1], off offset:1088
	v_mul_f32_e32 v46, v8, v221
	v_fmac_f32_e32 v46, v9, v220
	s_waitcnt vmcnt(0)
	v_mul_f32_e32 v0, v11, v225
	v_fma_f32 v45, v10, v224, -v0
	v_mul_f32_e32 v49, v10, v225
	s_waitcnt lgkmcnt(2)
	v_mul_f32_e32 v0, v13, v227
	v_fmac_f32_e32 v49, v11, v224
	v_fma_f32 v11, v12, v226, -v0
	v_lshlrev_b32_e32 v0, 4, v228
	v_add_co_u32_e32 v0, vcc, s10, v0
	v_addc_co_u32_e32 v1, vcc, 0, v233, vcc
	v_add_co_u32_e32 v0, vcc, s2, v0
	v_addc_co_u32_e32 v1, vcc, 0, v1, vcc
	global_load_dwordx4 v[228:231], v[0:1], off offset:1088
	v_mul_f32_e32 v50, v12, v227
	v_fmac_f32_e32 v50, v13, v226
	s_waitcnt vmcnt(0) lgkmcnt(1)
	v_mul_f32_e32 v0, v23, v229
	v_fma_f32 v51, v22, v228, -v0
	v_mul_f32_e32 v0, v15, v231
	v_fma_f32 v90, v14, v230, -v0
	v_lshlrev_b32_e32 v0, 4, v232
	v_add_co_u32_e32 v0, vcc, s10, v0
	v_addc_co_u32_e32 v1, vcc, 0, v233, vcc
	v_add_co_u32_e32 v0, vcc, s2, v0
	v_addc_co_u32_e32 v1, vcc, 0, v1, vcc
	global_load_dwordx4 v[232:235], v[0:1], off offset:1088
	v_mul_f32_e32 v91, v14, v231
	v_fmac_f32_e32 v91, v15, v230
	v_mul_f32_e32 v89, v22, v229
	v_fmac_f32_e32 v89, v23, v228
	v_sub_f32_e32 v1, v41, v43
	s_mov_b32 s2, 0xcd08
	s_waitcnt vmcnt(0)
	v_mul_f32_e32 v0, v25, v233
	v_fma_f32 v238, v24, v232, -v0
	s_waitcnt lgkmcnt(0)
	v_mul_f32_e32 v0, v32, v235
	v_fma_f32 v8, v31, v234, -v0
	v_add_f32_e32 v0, v252, v27
	v_add_f32_e32 v12, v0, v34
	v_add_f32_e32 v0, v27, v34
	v_fma_f32 v14, -0.5, v0, v252
	v_sub_f32_e32 v0, v33, v35
	v_mov_b32_e32 v16, v14
	v_fmac_f32_e32 v16, 0x3f5db3d7, v0
	v_fmac_f32_e32 v14, 0xbf5db3d7, v0
	v_add_f32_e32 v0, v253, v33
	v_add_f32_e32 v13, v0, v35
	v_add_f32_e32 v0, v33, v35
	v_fma_f32 v15, -0.5, v0, v253
	v_sub_f32_e32 v0, v27, v34
	v_mov_b32_e32 v17, v15
	v_fmac_f32_e32 v17, 0xbf5db3d7, v0
	v_fmac_f32_e32 v15, 0x3f5db3d7, v0
	;; [unrolled: 8-line block ×3, first 2 shown]
	v_add_f32_e32 v0, v255, v4
	v_add_f32_e32 v19, v0, v2
	v_add_f32_e32 v0, v4, v2
	v_fmac_f32_e32 v255, -0.5, v0
	v_sub_f32_e32 v0, v26, v5
	v_mov_b32_e32 v23, v255
	v_fmac_f32_e32 v23, 0xbf5db3d7, v0
	v_fmac_f32_e32 v255, 0x3f5db3d7, v0
	v_add_f32_e32 v0, v248, v3
	v_mul_f32_e32 v239, v24, v233
	v_add_f32_e32 v24, v0, v7
	v_add_f32_e32 v0, v3, v7
	v_fma_f32 v26, -0.5, v0, v248
	v_sub_f32_e32 v0, v6, v29
	v_mov_b32_e32 v28, v26
	v_fmac_f32_e32 v28, 0x3f5db3d7, v0
	v_fmac_f32_e32 v26, 0xbf5db3d7, v0
	v_add_f32_e32 v0, v249, v6
	v_fmac_f32_e32 v239, v25, v232
	v_add_f32_e32 v25, v0, v29
	v_add_f32_e32 v0, v6, v29
	v_fma_f32 v27, -0.5, v0, v249
	v_sub_f32_e32 v0, v3, v7
	v_mov_b32_e32 v29, v27
	v_fmac_f32_e32 v29, 0xbf5db3d7, v0
	v_fmac_f32_e32 v27, 0x3f5db3d7, v0
	v_add_f32_e32 v0, v250, v36
	v_add_f32_e32 v30, v0, v38
	;; [unrolled: 1-line block ×3, first 2 shown]
	v_mul_f32_e32 v9, v31, v235
	v_fma_f32 v250, -0.5, v0, v250
	v_fmac_f32_e32 v9, v32, v234
	v_sub_f32_e32 v0, v37, v39
	v_mov_b32_e32 v32, v250
	v_fmac_f32_e32 v32, 0x3f5db3d7, v0
	v_fmac_f32_e32 v250, 0xbf5db3d7, v0
	v_add_f32_e32 v0, v251, v37
	v_add_f32_e32 v31, v0, v39
	;; [unrolled: 1-line block ×3, first 2 shown]
	v_fmac_f32_e32 v251, -0.5, v0
	v_sub_f32_e32 v0, v36, v38
	v_mov_b32_e32 v33, v251
	v_fmac_f32_e32 v33, 0xbf5db3d7, v0
	v_fmac_f32_e32 v251, 0x3f5db3d7, v0
	v_add_f32_e32 v0, v244, v40
	v_add_f32_e32 v38, v0, v42
	;; [unrolled: 1-line block ×3, first 2 shown]
	v_fma_f32 v0, -0.5, v0, v244
	v_mov_b32_e32 v34, v0
	v_fmac_f32_e32 v34, 0x3f5db3d7, v1
	v_fmac_f32_e32 v0, 0xbf5db3d7, v1
	v_add_f32_e32 v1, v245, v41
	v_add_f32_e32 v39, v1, v43
	v_add_f32_e32 v1, v41, v43
	v_fma_f32 v1, -0.5, v1, v245
	v_sub_f32_e32 v2, v40, v42
	v_mov_b32_e32 v35, v1
	v_fmac_f32_e32 v35, 0xbf5db3d7, v2
	v_fmac_f32_e32 v1, 0x3f5db3d7, v2
	v_add_f32_e32 v2, v246, v44
	v_add_f32_e32 v6, v2, v47
	;; [unrolled: 1-line block ×3, first 2 shown]
	v_fma_f32 v246, -0.5, v2, v246
	v_sub_f32_e32 v3, v46, v48
	v_mov_b32_e32 v2, v246
	v_fmac_f32_e32 v2, 0x3f5db3d7, v3
	v_fmac_f32_e32 v246, 0xbf5db3d7, v3
	v_add_f32_e32 v3, v247, v46
	v_add_f32_e32 v7, v3, v48
	;; [unrolled: 1-line block ×3, first 2 shown]
	v_fmac_f32_e32 v247, -0.5, v3
	v_sub_f32_e32 v4, v44, v47
	v_mov_b32_e32 v3, v247
	v_fmac_f32_e32 v3, 0xbf5db3d7, v4
	v_fmac_f32_e32 v247, 0x3f5db3d7, v4
	v_add_f32_e32 v4, v240, v45
	v_add_f32_e32 v36, v4, v11
	v_add_f32_e32 v4, v45, v11
	v_fma_f32 v240, -0.5, v4, v240
	v_sub_f32_e32 v4, v49, v50
	v_mov_b32_e32 v10, v240
	v_fmac_f32_e32 v10, 0x3f5db3d7, v4
	v_fmac_f32_e32 v240, 0xbf5db3d7, v4
	v_add_f32_e32 v4, v241, v49
	v_add_f32_e32 v37, v4, v50
	v_add_f32_e32 v4, v49, v50
	v_fma_f32 v241, -0.5, v4, v241
	;; [unrolled: 8-line block ×3, first 2 shown]
	v_sub_f32_e32 v4, v89, v91
	v_mov_b32_e32 v248, v242
	v_fmac_f32_e32 v248, 0x3f5db3d7, v4
	v_fmac_f32_e32 v242, 0xbf5db3d7, v4
	v_add_f32_e32 v4, v243, v89
	v_add_f32_e32 v245, v4, v91
	v_add_f32_e32 v4, v89, v91
	v_fmac_f32_e32 v243, -0.5, v4
	v_sub_f32_e32 v4, v51, v90
	v_mov_b32_e32 v249, v243
	v_fmac_f32_e32 v249, 0xbf5db3d7, v4
	v_fmac_f32_e32 v243, 0x3f5db3d7, v4
	v_add_f32_e32 v4, v236, v238
	v_add_f32_e32 v252, v4, v8
	;; [unrolled: 1-line block ×3, first 2 shown]
	v_fma_f32 v236, -0.5, v4, v236
	v_sub_f32_e32 v5, v239, v9
	v_mov_b32_e32 v4, v236
	v_fmac_f32_e32 v4, 0x3f5db3d7, v5
	v_fmac_f32_e32 v236, 0xbf5db3d7, v5
	v_add_f32_e32 v5, v237, v239
	v_add_f32_e32 v253, v5, v9
	;; [unrolled: 1-line block ×3, first 2 shown]
	v_fmac_f32_e32 v237, -0.5, v5
	v_sub_f32_e32 v8, v238, v8
	v_mov_b32_e32 v5, v237
	ds_write_b64 v88, v[16:17] offset:17496
	ds_write_b64 v88, v[14:15] offset:34992
	ds_write2_b64 v88, v[12:13], v[18:19] offset1:243
	v_add_u32_e32 v40, 0x4bc0, v88
	v_add_u32_e32 v18, 0x9000, v88
	v_fmac_f32_e32 v5, 0xbf5db3d7, v8
	v_fmac_f32_e32 v237, 0x3f5db3d7, v8
	ds_write2_b64 v40, v[22:23], v[28:29] offset0:6 offset1:249
	ds_write2_b64 v18, v[254:255], v[26:27] offset0:9 offset1:252
	;; [unrolled: 1-line block ×4, first 2 shown]
	v_add_u32_e32 v23, 0x9f40, v88
	v_add_u32_e32 v24, 0xae80, v88
	v_add_u32_e32 v22, 0x2d80, v88
	v_add_u32_e32 v25, 0xbd80, v88
	ds_write2_b64 v23, v[250:251], v[0:1] offset0:7 offset1:250
	ds_write2_b64 v58, v[38:39], v[6:7] offset0:12 offset1:255
	;; [unrolled: 1-line block ×5, first 2 shown]
	ds_write_b64 v88, v[252:253] offset:15552
	ds_write2_b64 v57, v[248:249], v[4:5] offset1:243
	ds_write2_b64 v25, v[242:243], v[236:237] offset0:11 offset1:254
	s_waitcnt lgkmcnt(0)
	s_barrier
	ds_read2_b64 v[0:3], v88 offset1:243
	buffer_load_dword v4, off, s[24:27], 0 offset:688 ; 4-byte Folded Reload
	buffer_load_dword v5, off, s[24:27], 0 offset:692 ; 4-byte Folded Reload
	v_add_co_u32_e32 v8, vcc, s2, v20
	v_addc_co_u32_e32 v9, vcc, 0, v21, vcc
	s_mov_b32 s2, 0x11000
	v_add_co_u32_e32 v10, vcc, s2, v20
	v_addc_co_u32_e32 v11, vcc, 0, v21, vcc
	s_mov_b32 s2, 0x15000
	;; [unrolled: 3-line block ×3, first 2 shown]
	v_add_u32_e32 v27, 0xa700, v88
	v_add_u32_e32 v31, 0xb600, v88
	v_mov_b32_e32 v29, v56
	v_mov_b32_e32 v26, v55
	;; [unrolled: 1-line block ×10, first 2 shown]
	s_waitcnt vmcnt(0)
	global_load_dwordx2 v[4:5], v[4:5], off offset:3336
	s_waitcnt vmcnt(0) lgkmcnt(0)
	v_mul_f32_e32 v6, v1, v5
	v_mul_f32_e32 v7, v0, v5
	v_fma_f32 v6, v0, v4, -v6
	v_fmac_f32_e32 v7, v1, v4
	global_load_dwordx2 v[0:1], v[10:11], off offset:352
	ds_write_b64 v88, v[6:7]
	ds_read2_b64 v[236:239], v56 offset0:8 offset1:251
	v_mov_b32_e32 v56, v54
	s_waitcnt vmcnt(0) lgkmcnt(0)
	v_mul_f32_e32 v4, v239, v1
	v_mul_f32_e32 v13, v238, v1
	v_fma_f32 v12, v238, v0, -v4
	v_fmac_f32_e32 v13, v239, v0
	global_load_dwordx2 v[0:1], v[14:15], off offset:1464
	ds_read2_b64 v[4:7], v55 offset0:6 offset1:249
	v_mov_b32_e32 v55, v53
	s_waitcnt vmcnt(0) lgkmcnt(0)
	v_mul_f32_e32 v16, v5, v1
	v_mul_f32_e32 v239, v4, v1
	v_fma_f32 v238, v4, v0, -v16
	v_fmac_f32_e32 v239, v5, v0
	global_load_dwordx2 v[0:1], v[8:9], off offset:1944
	s_waitcnt vmcnt(0)
	v_mul_f32_e32 v4, v3, v1
	v_fma_f32 v16, v2, v0, -v4
	global_load_dwordx2 v[4:5], v[10:11], off offset:2296
	v_mul_f32_e32 v17, v2, v1
	v_fmac_f32_e32 v17, v3, v0
	ds_read2_b64 v[0:3], v40 offset0:6 offset1:249
	s_waitcnt vmcnt(0) lgkmcnt(0)
	v_mul_f32_e32 v10, v1, v5
	v_mul_f32_e32 v11, v0, v5
	v_fma_f32 v10, v0, v4, -v10
	v_fmac_f32_e32 v11, v1, v4
	v_add_u32_e32 v0, 0x4400, v88
	ds_write2_b64 v0, v[12:13], v[10:11] offset0:11 offset1:254
	global_load_dwordx2 v[0:1], v[14:15], off offset:3408
	s_waitcnt vmcnt(0)
	v_mul_f32_e32 v4, v7, v1
	v_mul_f32_e32 v11, v6, v1
	v_fma_f32 v10, v6, v0, -v4
	v_fmac_f32_e32 v11, v7, v0
	global_load_dwordx2 v[0:1], v[8:9], off offset:3888
	ds_read2_b64 v[4:7], v59 offset0:6 offset1:249
	v_mov_b32_e32 v59, v29
	s_waitcnt vmcnt(0) lgkmcnt(0)
	v_mul_f32_e32 v8, v5, v1
	v_mul_f32_e32 v9, v4, v1
	v_fma_f32 v8, v4, v0, -v8
	v_fmac_f32_e32 v9, v5, v0
	v_add_u32_e32 v0, 0x780, v88
	ds_write2_b64 v0, v[16:17], v[8:9] offset0:3 offset1:246
	v_add_co_u32_e32 v8, vcc, s2, v20
	v_addc_co_u32_e32 v9, vcc, 0, v21, vcc
	global_load_dwordx2 v[0:1], v[8:9], off offset:144
	s_mov_b32 s2, 0x16000
	v_add_co_u32_e32 v14, vcc, s2, v20
	v_addc_co_u32_e32 v15, vcc, 0, v21, vcc
	s_mov_b32 s2, 0xe000
	s_waitcnt vmcnt(0)
	v_mul_f32_e32 v4, v3, v1
	v_fma_f32 v12, v2, v0, -v4
	global_load_dwordx2 v[4:5], v[14:15], off offset:1256
	v_mul_f32_e32 v13, v2, v1
	v_fmac_f32_e32 v13, v3, v0
	ds_read2_b64 v[0:3], v54 offset0:12 offset1:255
	v_mov_b32_e32 v54, v58
	s_waitcnt vmcnt(0) lgkmcnt(0)
	v_mul_f32_e32 v16, v1, v5
	v_mul_f32_e32 v17, v0, v5
	v_fma_f32 v16, v0, v4, -v16
	v_fmac_f32_e32 v17, v1, v4
	ds_write2_b64 v18, v[10:11], v[16:17] offset0:9 offset1:252
	v_add_co_u32_e32 v10, vcc, s2, v20
	v_addc_co_u32_e32 v11, vcc, 0, v21, vcc
	global_load_dwordx2 v[0:1], v[10:11], off offset:976
	s_mov_b32 s2, 0x17000
	s_waitcnt vmcnt(0)
	v_mul_f32_e32 v4, v7, v1
	v_mul_f32_e32 v17, v6, v1
	v_fma_f32 v16, v6, v0, -v4
	v_fmac_f32_e32 v17, v7, v0
	global_load_dwordx2 v[0:1], v[8:9], off offset:2088
	ds_read2_b64 v[4:7], v53 offset0:4 offset1:247
	v_mov_b32_e32 v53, v35
	s_waitcnt vmcnt(0) lgkmcnt(0)
	v_mul_f32_e32 v18, v5, v1
	v_mul_f32_e32 v19, v4, v1
	v_fma_f32 v18, v4, v0, -v18
	v_fmac_f32_e32 v19, v5, v0
	v_add_u32_e32 v0, 0x5380, v88
	ds_write2_b64 v0, v[12:13], v[18:19] offset0:1 offset1:244
	global_load_dwordx2 v[0:1], v[14:15], off offset:3200
	s_waitcnt vmcnt(0)
	v_mul_f32_e32 v4, v3, v1
	v_fma_f32 v12, v2, v0, -v4
	global_load_dwordx2 v[4:5], v[10:11], off offset:2920
	v_mul_f32_e32 v13, v2, v1
	v_fmac_f32_e32 v13, v3, v0
	ds_read2_b64 v[0:3], v58 offset0:12 offset1:255
	v_mov_b32_e32 v58, v26
	s_waitcnt vmcnt(0) lgkmcnt(0)
	v_mul_f32_e32 v10, v1, v5
	v_mul_f32_e32 v11, v0, v5
	v_fma_f32 v10, v0, v4, -v10
	v_fmac_f32_e32 v11, v1, v4
	v_add_u32_e32 v0, 0x1680, v88
	ds_write2_b64 v0, v[16:17], v[10:11] offset0:9 offset1:252
	global_load_dwordx2 v[0:1], v[8:9], off offset:4032
	v_add_co_u32_e32 v10, vcc, s2, v20
	v_addc_co_u32_e32 v11, vcc, 0, v21, vcc
	s_mov_b32 s2, 0xf000
	s_waitcnt vmcnt(0)
	v_mul_f32_e32 v4, v7, v1
	v_mul_f32_e32 v9, v6, v1
	v_fma_f32 v8, v6, v0, -v4
	v_fmac_f32_e32 v9, v7, v0
	global_load_dwordx2 v[0:1], v[10:11], off offset:1048
	ds_read2_b64 v[4:7], v27 offset0:2 offset1:245
	s_waitcnt vmcnt(0) lgkmcnt(0)
	v_mul_f32_e32 v14, v5, v1
	v_mul_f32_e32 v15, v4, v1
	v_fma_f32 v14, v4, v0, -v14
	v_fmac_f32_e32 v15, v5, v0
	ds_write2_b64 v23, v[12:13], v[14:15] offset0:7 offset1:250
	v_add_co_u32_e32 v12, vcc, s2, v20
	v_addc_co_u32_e32 v13, vcc, 0, v21, vcc
	global_load_dwordx2 v[0:1], v[12:13], off offset:768
	s_mov_b32 s2, 0x13000
	v_add_co_u32_e32 v16, vcc, s2, v20
	v_addc_co_u32_e32 v17, vcc, 0, v21, vcc
	s_mov_b32 s2, 0x18000
	s_waitcnt vmcnt(0)
	v_mul_f32_e32 v4, v3, v1
	v_fma_f32 v14, v2, v0, -v4
	global_load_dwordx2 v[4:5], v[16:17], off offset:1880
	v_mul_f32_e32 v15, v2, v1
	v_fmac_f32_e32 v15, v3, v0
	ds_read2_b64 v[0:3], v52 offset0:10 offset1:253
	v_mov_b32_e32 v52, v27
	s_waitcnt vmcnt(0) lgkmcnt(0)
	v_mul_f32_e32 v18, v1, v5
	v_mul_f32_e32 v19, v0, v5
	v_fma_f32 v18, v0, v4, -v18
	v_fmac_f32_e32 v19, v1, v4
	v_add_u32_e32 v0, 0x6280, v88
	ds_write2_b64 v0, v[8:9], v[18:19] offset0:7 offset1:250
	global_load_dwordx2 v[0:1], v[10:11], off offset:2992
	s_waitcnt vmcnt(0)
	v_mul_f32_e32 v4, v7, v1
	v_mul_f32_e32 v9, v6, v1
	v_fma_f32 v8, v6, v0, -v4
	v_fmac_f32_e32 v9, v7, v0
	global_load_dwordx2 v[0:1], v[12:13], off offset:2712
	ds_read2_b64 v[4:7], v22 offset0:2 offset1:245
	v_add_co_u32_e32 v12, vcc, s2, v20
	v_addc_co_u32_e32 v13, vcc, 0, v21, vcc
	s_mov_b32 s2, 0x10000
	s_waitcnt vmcnt(0) lgkmcnt(0)
	v_mul_f32_e32 v10, v5, v1
	v_mul_f32_e32 v11, v4, v1
	v_fma_f32 v10, v4, v0, -v10
	v_fmac_f32_e32 v11, v5, v0
	v_add_u32_e32 v0, 0x25c0, v88
	ds_write2_b64 v0, v[14:15], v[10:11] offset0:7 offset1:250
	global_load_dwordx2 v[0:1], v[16:17], off offset:3824
	s_waitcnt vmcnt(0)
	v_mul_f32_e32 v4, v3, v1
	v_fma_f32 v10, v2, v0, -v4
	global_load_dwordx2 v[4:5], v[12:13], off offset:840
	v_mul_f32_e32 v11, v2, v1
	v_fmac_f32_e32 v11, v3, v0
	ds_read2_b64 v[0:3], v31 offset0:8 offset1:251
	s_waitcnt vmcnt(0) lgkmcnt(0)
	v_mul_f32_e32 v14, v1, v5
	v_fma_f32 v14, v0, v4, -v14
	v_mul_f32_e32 v15, v0, v5
	v_add_co_u32_e32 v0, vcc, s2, v20
	v_fmac_f32_e32 v15, v1, v4
	v_addc_co_u32_e32 v1, vcc, 0, v21, vcc
	global_load_dwordx2 v[4:5], v[0:1], off offset:560
	s_mov_b32 s2, 0x14000
	ds_write2_b64 v24, v[8:9], v[14:15] offset0:5 offset1:248
	v_add_co_u32_e32 v14, vcc, s2, v20
	v_addc_co_u32_e32 v15, vcc, 0, v21, vcc
	global_load_dwordx2 v[16:17], v[14:15], off offset:1672
	s_mov_b32 s2, 0x19000
	global_load_dwordx2 v[0:1], v[0:1], off offset:2504
	s_waitcnt vmcnt(2)
	v_mul_f32_e32 v8, v7, v5
	v_mul_f32_e32 v9, v6, v5
	v_fma_f32 v8, v6, v4, -v8
	v_fmac_f32_e32 v9, v7, v4
	ds_read2_b64 v[4:7], v57 offset1:243
	v_mov_b32_e32 v57, v40
	s_waitcnt vmcnt(1) lgkmcnt(0)
	v_mul_f32_e32 v18, v5, v17
	v_mul_f32_e32 v19, v4, v17
	v_fma_f32 v18, v4, v16, -v18
	v_fmac_f32_e32 v19, v5, v16
	v_add_u32_e32 v4, 0x71c0, v88
	ds_write2_b64 v4, v[10:11], v[18:19] offset0:5 offset1:248
	global_load_dwordx2 v[4:5], v[12:13], off offset:2784
	s_waitcnt vmcnt(0)
	v_mul_f32_e32 v10, v3, v5
	v_mul_f32_e32 v11, v2, v5
	v_fma_f32 v10, v2, v4, -v10
	v_fmac_f32_e32 v11, v3, v4
	v_mul_f32_e32 v2, v237, v1
	v_mul_f32_e32 v3, v236, v1
	v_fma_f32 v2, v236, v0, -v2
	v_fmac_f32_e32 v3, v237, v0
	v_add_u32_e32 v0, 0x3500, v88
	ds_write2_b64 v0, v[8:9], v[2:3] offset0:5 offset1:248
	global_load_dwordx2 v[0:1], v[14:15], off offset:3616
	s_waitcnt vmcnt(0)
	v_mul_f32_e32 v2, v7, v1
	v_mul_f32_e32 v3, v6, v1
	v_fma_f32 v2, v6, v0, -v2
	v_fmac_f32_e32 v3, v7, v0
	v_add_u32_e32 v0, 0x8100, v88
	ds_write2_b64 v0, v[2:3], v[238:239] offset0:3 offset1:246
	v_add_co_u32_e32 v2, vcc, s2, v20
	v_addc_co_u32_e32 v3, vcc, 0, v21, vcc
	global_load_dwordx2 v[2:3], v[2:3], off offset:632
	ds_read_b64 v[0:1], v88 offset:50544
	s_mov_b32 s2, 0xab547995
	s_mov_b32 s3, 0x3f23fa39
	s_waitcnt vmcnt(0) lgkmcnt(0)
	v_mul_f32_e32 v4, v1, v3
	v_mul_f32_e32 v5, v0, v3
	v_fma_f32 v4, v0, v2, -v4
	v_fmac_f32_e32 v5, v1, v2
	ds_write2_b64 v25, v[10:11], v[4:5] offset0:11 offset1:254
	s_waitcnt lgkmcnt(0)
	s_barrier
	ds_read2_b64 v[252:255], v88 offset1:243
	ds_read2_b64 v[236:239], v29 offset0:8 offset1:251
	ds_read2_b64 v[0:3], v26 offset0:6 offset1:249
	;; [unrolled: 1-line block ×8, first 2 shown]
	s_waitcnt lgkmcnt(7)
	v_add_f32_e32 v18, v252, v238
	s_waitcnt lgkmcnt(6)
	v_add_f32_e32 v43, v18, v0
	v_add_f32_e32 v18, v238, v0
	v_fma_f32 v37, -0.5, v18, v252
	v_sub_f32_e32 v18, v239, v1
	v_mov_b32_e32 v35, v37
	v_fmac_f32_e32 v35, 0xbf5db3d7, v18
	v_fmac_f32_e32 v37, 0x3f5db3d7, v18
	v_add_f32_e32 v18, v253, v239
	v_add_f32_e32 v44, v18, v1
	v_add_f32_e32 v1, v239, v1
	v_fma_f32 v38, -0.5, v1, v253
	ds_read2_b64 v[27:30], v32 offset0:10 offset1:253
	ds_read2_b64 v[240:243], v34 offset0:2 offset1:245
	;; [unrolled: 1-line block ×3, first 2 shown]
	ds_read2_b64 v[31:34], v36 offset1:243
	v_sub_f32_e32 v0, v238, v0
	v_mov_b32_e32 v36, v38
	v_fmac_f32_e32 v36, 0x3f5db3d7, v0
	v_fmac_f32_e32 v38, 0xbf5db3d7, v0
	s_waitcnt lgkmcnt(9)
	v_add_f32_e32 v0, v254, v4
	v_add_f32_e32 v41, v0, v2
	v_add_f32_e32 v0, v4, v2
	v_fma_f32 v254, -0.5, v0, v254
	v_sub_f32_e32 v0, v5, v3
	v_mov_b32_e32 v39, v254
	v_fmac_f32_e32 v39, 0xbf5db3d7, v0
	v_fmac_f32_e32 v254, 0x3f5db3d7, v0
	v_add_f32_e32 v0, v255, v5
	v_add_f32_e32 v42, v0, v3
	v_add_f32_e32 v0, v5, v3
	v_fmac_f32_e32 v255, -0.5, v0
	v_sub_f32_e32 v0, v4, v2
	v_mov_b32_e32 v40, v255
	v_fmac_f32_e32 v40, 0x3f5db3d7, v0
	v_fmac_f32_e32 v255, 0xbf5db3d7, v0
	s_waitcnt lgkmcnt(8)
	v_add_f32_e32 v0, v248, v6
	s_waitcnt lgkmcnt(7)
	v_add_f32_e32 v45, v0, v8
	v_add_f32_e32 v0, v6, v8
	v_fma_f32 v0, -0.5, v0, v248
	v_sub_f32_e32 v1, v7, v9
	v_mov_b32_e32 v49, v0
	v_fmac_f32_e32 v49, 0xbf5db3d7, v1
	v_fmac_f32_e32 v0, 0x3f5db3d7, v1
	v_add_f32_e32 v1, v249, v7
	v_add_f32_e32 v46, v1, v9
	v_add_f32_e32 v1, v7, v9
	v_fma_f32 v1, -0.5, v1, v249
	v_sub_f32_e32 v2, v6, v8
	v_mov_b32_e32 v50, v1
	v_fmac_f32_e32 v50, 0x3f5db3d7, v2
	v_fmac_f32_e32 v1, 0xbf5db3d7, v2
	s_waitcnt lgkmcnt(6)
	v_add_f32_e32 v2, v250, v19
	v_add_f32_e32 v47, v2, v10
	v_add_f32_e32 v2, v19, v10
	v_fma_f32 v250, -0.5, v2, v250
	v_sub_f32_e32 v2, v20, v11
	v_mov_b32_e32 v18, v250
	v_fmac_f32_e32 v18, 0xbf5db3d7, v2
	v_fmac_f32_e32 v250, 0x3f5db3d7, v2
	v_add_f32_e32 v2, v251, v20
	v_add_f32_e32 v48, v2, v11
	v_add_f32_e32 v2, v20, v11
	v_fmac_f32_e32 v251, -0.5, v2
	v_sub_f32_e32 v2, v19, v10
	v_mov_b32_e32 v19, v251
	v_fmac_f32_e32 v19, 0x3f5db3d7, v2
	v_fmac_f32_e32 v251, 0xbf5db3d7, v2
	s_waitcnt lgkmcnt(5)
	v_add_f32_e32 v2, v244, v21
	s_waitcnt lgkmcnt(4)
	v_add_f32_e32 v10, v2, v23
	v_add_f32_e32 v2, v21, v23
	v_fma_f32 v248, -0.5, v2, v244
	v_sub_f32_e32 v3, v22, v24
	v_mov_b32_e32 v2, v248
	v_fmac_f32_e32 v2, 0xbf5db3d7, v3
	v_fmac_f32_e32 v248, 0x3f5db3d7, v3
	v_add_f32_e32 v3, v245, v22
	v_add_f32_e32 v11, v3, v24
	v_add_f32_e32 v3, v22, v24
	v_fma_f32 v249, -0.5, v3, v245
	;; [unrolled: 35-line block ×3, first 2 shown]
	v_sub_f32_e32 v4, v29, v12
	v_mov_b32_e32 v239, v7
	v_fmac_f32_e32 v239, 0x3f5db3d7, v4
	v_fmac_f32_e32 v7, 0xbf5db3d7, v4
	s_waitcnt lgkmcnt(0)
	v_add_f32_e32 v4, v242, v31
	v_add_f32_e32 v12, v4, v14
	;; [unrolled: 1-line block ×3, first 2 shown]
	v_fma_f32 v242, -0.5, v4, v242
	v_sub_f32_e32 v4, v32, v15
	v_mov_b32_e32 v8, v242
	ds_read_b64 v[16:17], v88 offset:50544
	v_fmac_f32_e32 v8, 0xbf5db3d7, v4
	v_fmac_f32_e32 v242, 0x3f5db3d7, v4
	v_add_f32_e32 v4, v243, v32
	v_add_f32_e32 v13, v4, v15
	;; [unrolled: 1-line block ×3, first 2 shown]
	v_fmac_f32_e32 v243, -0.5, v4
	v_sub_f32_e32 v4, v31, v14
	v_mov_b32_e32 v9, v243
	v_fmac_f32_e32 v9, 0x3f5db3d7, v4
	v_fmac_f32_e32 v243, 0xbf5db3d7, v4
	v_add_f32_e32 v4, v236, v33
	s_waitcnt lgkmcnt(0)
	v_add_f32_e32 v240, v4, v16
	v_add_f32_e32 v4, v33, v16
	v_fma_f32 v236, -0.5, v4, v236
	v_sub_f32_e32 v5, v34, v17
	v_mov_b32_e32 v4, v236
	v_fmac_f32_e32 v4, 0xbf5db3d7, v5
	v_fmac_f32_e32 v236, 0x3f5db3d7, v5
	v_add_f32_e32 v5, v237, v34
	v_add_f32_e32 v241, v5, v17
	;; [unrolled: 1-line block ×3, first 2 shown]
	v_fmac_f32_e32 v237, -0.5, v5
	v_sub_f32_e32 v14, v33, v16
	v_mov_b32_e32 v5, v237
	v_fmac_f32_e32 v5, 0x3f5db3d7, v14
	v_fmac_f32_e32 v237, 0xbf5db3d7, v14
	s_barrier
	buffer_load_dword v14, off, s[24:27], 0 offset:628 ; 4-byte Folded Reload
	s_waitcnt vmcnt(0)
	ds_write2_b64 v14, v[43:44], v[35:36] offset1:1
	ds_write_b64 v14, v[37:38] offset:16
	buffer_load_dword v14, off, s[24:27], 0 offset:624 ; 4-byte Folded Reload
	s_waitcnt vmcnt(0)
	ds_write2_b64 v14, v[41:42], v[39:40] offset1:1
	ds_write_b64 v14, v[254:255] offset:16
	;; [unrolled: 4-line block ×9, first 2 shown]
	s_waitcnt lgkmcnt(0)
	s_barrier
	ds_read2_b64 v[252:255], v88 offset1:243
	ds_read2_b64 v[236:239], v59 offset0:8 offset1:251
	ds_read2_b64 v[0:3], v58 offset0:6 offset1:249
	;; [unrolled: 1-line block ×11, first 2 shown]
	s_waitcnt lgkmcnt(9)
	v_mul_f32_e32 v36, v111, v1
	v_fmac_f32_e32 v36, v110, v0
	v_mul_f32_e32 v0, v111, v0
	v_fma_f32 v0, v110, v1, -v0
	s_waitcnt lgkmcnt(8)
	v_mul_f32_e32 v1, v113, v5
	v_fmac_f32_e32 v1, v112, v4
	v_mul_f32_e32 v4, v113, v4
	v_fma_f32 v4, v112, v5, -v4
	v_mul_f32_e32 v5, v115, v3
	v_fmac_f32_e32 v5, v114, v2
	v_mul_f32_e32 v2, v115, v2
	v_fma_f32 v2, v114, v3, -v2
	;; [unrolled: 4-line block ×3, first 2 shown]
	s_waitcnt lgkmcnt(6)
	v_mul_f32_e32 v7, v127, v9
	v_fmac_f32_e32 v7, v126, v8
	v_mul_f32_e32 v8, v127, v8
	v_fma_f32 v8, v126, v9, -v8
	s_waitcnt lgkmcnt(5)
	v_mul_f32_e32 v9, v129, v13
	v_fmac_f32_e32 v9, v128, v12
	v_mul_f32_e32 v12, v129, v12
	v_fma_f32 v12, v128, v13, -v12
	v_mul_f32_e32 v13, v131, v11
	v_fmac_f32_e32 v13, v130, v10
	v_mul_f32_e32 v10, v131, v10
	v_fma_f32 v10, v130, v11, -v10
	v_mul_f32_e32 v11, v133, v15
	v_fmac_f32_e32 v11, v132, v14
	v_mul_f32_e32 v14, v133, v14
	ds_read2_b64 v[28:31], v51 offset1:243
	v_fma_f32 v37, v132, v15, -v14
	s_waitcnt lgkmcnt(4)
	v_mul_f32_e32 v14, v135, v16
	v_fma_f32 v39, v134, v17, -v14
	s_waitcnt lgkmcnt(3)
	v_mul_f32_e32 v14, v137, v20
	v_fma_f32 v41, v136, v21, -v14
	v_mul_f32_e32 v14, v139, v18
	ds_read_b64 v[32:33], v88 offset:50544
	v_fma_f32 v43, v138, v19, -v14
	v_mul_f32_e32 v14, v145, v22
	v_fma_f32 v45, v144, v23, -v14
	s_waitcnt lgkmcnt(2)
	v_mul_f32_e32 v14, v147, v24
	v_fma_f32 v47, v146, v25, -v14
	s_waitcnt lgkmcnt(1)
	v_mul_f32_e32 v14, v149, v28
	v_fma_f32 v49, v148, v29, -v14
	v_mul_f32_e32 v14, v151, v26
	v_mov_b32_e32 v52, v51
	v_mul_f32_e32 v34, v109, v239
	v_fma_f32 v51, v150, v27, -v14
	v_mul_f32_e32 v14, v117, v30
	v_mov_b32_e32 v56, v89
	v_fmac_f32_e32 v34, v108, v238
	v_mul_f32_e32 v89, v117, v31
	v_fma_f32 v90, v116, v31, -v14
	s_waitcnt lgkmcnt(0)
	v_mul_f32_e32 v14, v119, v32
	v_mul_f32_e32 v38, v135, v17
	v_fmac_f32_e32 v89, v116, v30
	v_fma_f32 v116, v118, v33, -v14
	v_add_f32_e32 v14, v252, v34
	v_mul_f32_e32 v35, v109, v238
	v_fmac_f32_e32 v38, v134, v16
	v_mul_f32_e32 v42, v139, v19
	v_add_f32_e32 v16, v14, v36
	v_add_f32_e32 v14, v34, v36
	v_fma_f32 v35, v108, v239, -v35
	v_mul_f32_e32 v40, v137, v21
	v_fmac_f32_e32 v42, v138, v18
	v_fma_f32 v18, -0.5, v14, v252
	v_fmac_f32_e32 v40, v136, v20
	v_sub_f32_e32 v14, v35, v0
	v_mov_b32_e32 v20, v18
	v_fmac_f32_e32 v20, 0xbf5db3d7, v14
	v_fmac_f32_e32 v18, 0x3f5db3d7, v14
	v_add_f32_e32 v14, v253, v35
	v_add_f32_e32 v17, v14, v0
	;; [unrolled: 1-line block ×3, first 2 shown]
	v_fma_f32 v19, -0.5, v0, v253
	v_sub_f32_e32 v0, v34, v36
	v_mov_b32_e32 v21, v19
	v_mul_f32_e32 v44, v145, v23
	v_fmac_f32_e32 v21, 0x3f5db3d7, v0
	v_fmac_f32_e32 v19, 0xbf5db3d7, v0
	v_add_f32_e32 v0, v254, v1
	v_fmac_f32_e32 v44, v144, v22
	v_add_f32_e32 v22, v0, v5
	v_add_f32_e32 v0, v1, v5
	v_mul_f32_e32 v46, v147, v25
	v_fma_f32 v254, -0.5, v0, v254
	v_fmac_f32_e32 v46, v146, v24
	v_sub_f32_e32 v0, v4, v2
	v_mov_b32_e32 v24, v254
	v_fmac_f32_e32 v24, 0xbf5db3d7, v0
	v_fmac_f32_e32 v254, 0x3f5db3d7, v0
	v_add_f32_e32 v0, v255, v4
	v_add_f32_e32 v23, v0, v2
	;; [unrolled: 1-line block ×3, first 2 shown]
	v_fmac_f32_e32 v255, -0.5, v0
	v_sub_f32_e32 v0, v1, v5
	v_mov_b32_e32 v25, v255
	v_mul_f32_e32 v50, v151, v27
	v_fmac_f32_e32 v25, 0x3f5db3d7, v0
	v_fmac_f32_e32 v255, 0xbf5db3d7, v0
	v_add_f32_e32 v0, v248, v3
	v_mul_f32_e32 v48, v149, v29
	v_fmac_f32_e32 v50, v150, v26
	v_add_f32_e32 v26, v0, v7
	v_add_f32_e32 v0, v3, v7
	v_fmac_f32_e32 v48, v148, v28
	v_fma_f32 v28, -0.5, v0, v248
	v_sub_f32_e32 v0, v6, v8
	v_mov_b32_e32 v30, v28
	v_fmac_f32_e32 v30, 0xbf5db3d7, v0
	v_fmac_f32_e32 v28, 0x3f5db3d7, v0
	v_add_f32_e32 v0, v249, v6
	v_add_f32_e32 v27, v0, v8
	;; [unrolled: 1-line block ×3, first 2 shown]
	v_fma_f32 v29, -0.5, v0, v249
	v_sub_f32_e32 v0, v3, v7
	v_mov_b32_e32 v31, v29
	v_mul_f32_e32 v91, v119, v33
	v_fmac_f32_e32 v31, 0x3f5db3d7, v0
	v_fmac_f32_e32 v29, 0xbf5db3d7, v0
	v_add_f32_e32 v0, v250, v9
	v_fmac_f32_e32 v91, v118, v32
	v_add_f32_e32 v32, v0, v13
	v_add_f32_e32 v0, v9, v13
	v_fma_f32 v250, -0.5, v0, v250
	v_sub_f32_e32 v0, v12, v10
	v_mov_b32_e32 v34, v250
	v_fmac_f32_e32 v34, 0xbf5db3d7, v0
	v_fmac_f32_e32 v250, 0x3f5db3d7, v0
	v_add_f32_e32 v0, v251, v12
	v_add_f32_e32 v33, v0, v10
	;; [unrolled: 1-line block ×3, first 2 shown]
	v_fmac_f32_e32 v251, -0.5, v0
	v_sub_f32_e32 v0, v9, v13
	v_mov_b32_e32 v35, v251
	v_fmac_f32_e32 v35, 0x3f5db3d7, v0
	v_fmac_f32_e32 v251, 0xbf5db3d7, v0
	v_add_f32_e32 v0, v244, v11
	v_add_f32_e32 v14, v0, v38
	v_add_f32_e32 v0, v11, v38
	v_fma_f32 v12, -0.5, v0, v244
	v_sub_f32_e32 v0, v37, v39
	v_mov_b32_e32 v114, v12
	v_fmac_f32_e32 v114, 0xbf5db3d7, v0
	v_fmac_f32_e32 v12, 0x3f5db3d7, v0
	v_add_f32_e32 v0, v245, v37
	v_add_f32_e32 v15, v0, v39
	v_add_f32_e32 v0, v37, v39
	v_fma_f32 v13, -0.5, v0, v245
	;; [unrolled: 8-line block ×3, first 2 shown]
	v_sub_f32_e32 v0, v41, v43
	v_mov_b32_e32 v112, v246
	v_fmac_f32_e32 v112, 0xbf5db3d7, v0
	v_fmac_f32_e32 v246, 0x3f5db3d7, v0
	v_add_f32_e32 v0, v247, v41
	v_add_f32_e32 v111, v0, v43
	;; [unrolled: 1-line block ×3, first 2 shown]
	v_fmac_f32_e32 v247, -0.5, v0
	v_sub_f32_e32 v0, v40, v42
	v_mov_b32_e32 v113, v247
	v_fmac_f32_e32 v113, 0x3f5db3d7, v0
	v_fmac_f32_e32 v247, 0xbf5db3d7, v0
	v_add_f32_e32 v0, v240, v44
	v_add_f32_e32 v10, v0, v46
	v_add_f32_e32 v0, v44, v46
	v_fma_f32 v8, -0.5, v0, v240
	v_sub_f32_e32 v0, v45, v47
	v_mov_b32_e32 v108, v8
	v_fmac_f32_e32 v108, 0xbf5db3d7, v0
	v_fmac_f32_e32 v8, 0x3f5db3d7, v0
	v_add_f32_e32 v0, v241, v45
	v_add_f32_e32 v11, v0, v47
	v_add_f32_e32 v0, v45, v47
	v_fma_f32 v9, -0.5, v0, v241
	;; [unrolled: 8-line block ×3, first 2 shown]
	v_sub_f32_e32 v0, v49, v51
	v_mov_b32_e32 v6, v242
	v_fmac_f32_e32 v6, 0xbf5db3d7, v0
	v_fmac_f32_e32 v242, 0x3f5db3d7, v0
	v_add_f32_e32 v0, v243, v49
	v_add_f32_e32 v5, v0, v51
	;; [unrolled: 1-line block ×3, first 2 shown]
	v_fmac_f32_e32 v243, -0.5, v0
	v_sub_f32_e32 v0, v48, v50
	v_mov_b32_e32 v7, v243
	v_add_f32_e32 v1, v89, v91
	v_fmac_f32_e32 v7, 0x3f5db3d7, v0
	v_fmac_f32_e32 v243, 0xbf5db3d7, v0
	v_add_f32_e32 v0, v236, v89
	v_fma_f32 v236, -0.5, v1, v236
	v_sub_f32_e32 v1, v90, v116
	v_mov_b32_e32 v2, v236
	v_add_f32_e32 v3, v90, v116
	v_fmac_f32_e32 v2, 0xbf5db3d7, v1
	v_fmac_f32_e32 v236, 0x3f5db3d7, v1
	v_add_f32_e32 v1, v237, v90
	v_fmac_f32_e32 v237, -0.5, v3
	v_sub_f32_e32 v36, v89, v91
	v_mov_b32_e32 v3, v237
	v_fmac_f32_e32 v3, 0x3f5db3d7, v36
	v_fmac_f32_e32 v237, 0xbf5db3d7, v36
	s_barrier
	buffer_load_dword v36, off, s[24:27], 0 offset:504 ; 4-byte Folded Reload
	s_waitcnt vmcnt(0)
	ds_write2_b64 v36, v[16:17], v[20:21] offset1:3
	ds_write_b64 v36, v[18:19] offset:48
	buffer_load_dword v16, off, s[24:27], 0 offset:488 ; 4-byte Folded Reload
	s_waitcnt vmcnt(0)
	ds_write2_b64 v16, v[22:23], v[24:25] offset1:3
	ds_write_b64 v16, v[254:255] offset:48
	;; [unrolled: 4-line block ×8, first 2 shown]
	buffer_load_dword v4, off, s[24:27], 0 offset:228 ; 4-byte Folded Reload
	v_add_f32_e32 v0, v0, v91
	v_add_f32_e32 v1, v1, v116
	v_add_u32_e32 v139, 0x9780, v88
	v_add_u32_e32 v132, 0xa700, v88
	v_add_u32_e32 v137, 0x6a00, v88
	v_add_u32_e32 v136, 0x2d80, v88
	s_waitcnt vmcnt(0)
	ds_write2_b64 v4, v[0:1], v[2:3] offset1:3
	ds_write_b64 v4, v[236:237] offset:48
	s_waitcnt lgkmcnt(0)
	s_barrier
	ds_read2_b64 v[128:131], v88 offset1:243
	ds_read2_b64 v[108:111], v59 offset0:8 offset1:251
	ds_read2_b64 v[0:3], v58 offset0:6 offset1:249
	;; [unrolled: 1-line block ×11, first 2 shown]
	ds_read2_b64 v[28:31], v52 offset1:243
	ds_read_b64 v[32:33], v88 offset:50544
	buffer_load_dword v36, off, s[24:27], 0 offset:232 ; 4-byte Folded Reload
	buffer_load_dword v37, off, s[24:27], 0 offset:236 ; 4-byte Folded Reload
	;; [unrolled: 1-line block ×4, first 2 shown]
	v_mov_b32_e32 v145, v57
	v_mov_b32_e32 v135, v56
	;; [unrolled: 1-line block ×4, first 2 shown]
	s_waitcnt vmcnt(2) lgkmcnt(12)
	v_mul_f32_e32 v34, v37, v111
	v_mul_f32_e32 v35, v37, v110
	v_fmac_f32_e32 v34, v36, v110
	v_fma_f32 v35, v36, v111, -v35
	s_waitcnt vmcnt(0) lgkmcnt(11)
	v_mul_f32_e32 v36, v39, v1
	v_fmac_f32_e32 v36, v38, v0
	v_mul_f32_e32 v0, v39, v0
	v_fma_f32 v0, v38, v1, -v0
	buffer_load_dword v37, off, s[24:27], 0 offset:252 ; 4-byte Folded Reload
	buffer_load_dword v38, off, s[24:27], 0 offset:256 ; 4-byte Folded Reload
	;; [unrolled: 1-line block ×4, first 2 shown]
	s_waitcnt vmcnt(2) lgkmcnt(10)
	v_mul_f32_e32 v1, v38, v5
	v_fmac_f32_e32 v1, v37, v4
	v_mul_f32_e32 v4, v38, v4
	v_fma_f32 v4, v37, v5, -v4
	s_waitcnt vmcnt(0)
	v_mul_f32_e32 v5, v40, v3
	v_fmac_f32_e32 v5, v39, v2
	v_mul_f32_e32 v2, v40, v2
	v_fma_f32 v2, v39, v3, -v2
	buffer_load_dword v37, off, s[24:27], 0 offset:272 ; 4-byte Folded Reload
	buffer_load_dword v38, off, s[24:27], 0 offset:276 ; 4-byte Folded Reload
	;; [unrolled: 1-line block ×4, first 2 shown]
	s_waitcnt vmcnt(2)
	v_mul_f32_e32 v3, v38, v7
	v_fmac_f32_e32 v3, v37, v6
	v_mul_f32_e32 v6, v38, v6
	v_fma_f32 v6, v37, v7, -v6
	s_waitcnt vmcnt(0) lgkmcnt(8)
	v_mul_f32_e32 v7, v40, v9
	v_fmac_f32_e32 v7, v39, v8
	v_mul_f32_e32 v8, v40, v8
	v_fma_f32 v8, v39, v9, -v8
	buffer_load_dword v37, off, s[24:27], 0 offset:312 ; 4-byte Folded Reload
	buffer_load_dword v38, off, s[24:27], 0 offset:316 ; 4-byte Folded Reload
	;; [unrolled: 1-line block ×4, first 2 shown]
	s_waitcnt vmcnt(2) lgkmcnt(7)
	v_mul_f32_e32 v9, v38, v13
	v_fmac_f32_e32 v9, v37, v12
	v_mul_f32_e32 v12, v38, v12
	v_fma_f32 v12, v37, v13, -v12
	s_waitcnt vmcnt(0)
	v_mul_f32_e32 v13, v40, v11
	v_fmac_f32_e32 v13, v39, v10
	v_mul_f32_e32 v10, v40, v10
	v_fma_f32 v10, v39, v11, -v10
	buffer_load_dword v37, off, s[24:27], 0 offset:352 ; 4-byte Folded Reload
	buffer_load_dword v38, off, s[24:27], 0 offset:356 ; 4-byte Folded Reload
	buffer_load_dword v39, off, s[24:27], 0 offset:360 ; 4-byte Folded Reload
	buffer_load_dword v40, off, s[24:27], 0 offset:364 ; 4-byte Folded Reload
	s_waitcnt vmcnt(2)
	v_mul_f32_e32 v11, v38, v15
	v_fmac_f32_e32 v11, v37, v14
	v_mul_f32_e32 v14, v38, v14
	v_fma_f32 v44, v37, v15, -v14
	s_waitcnt vmcnt(0) lgkmcnt(5)
	v_mul_f32_e32 v45, v40, v17
	v_mul_f32_e32 v14, v40, v16
	v_fmac_f32_e32 v45, v39, v16
	v_fma_f32 v16, v39, v17, -v14
	buffer_load_dword v37, off, s[24:27], 0 offset:396 ; 4-byte Folded Reload
	buffer_load_dword v38, off, s[24:27], 0 offset:400 ; 4-byte Folded Reload
	;; [unrolled: 1-line block ×4, first 2 shown]
	s_waitcnt vmcnt(2) lgkmcnt(4)
	v_mul_f32_e32 v14, v38, v20
	v_mul_f32_e32 v17, v38, v21
	v_fma_f32 v21, v37, v21, -v14
	s_waitcnt vmcnt(0)
	v_mul_f32_e32 v46, v40, v19
	v_mul_f32_e32 v14, v40, v18
	v_fmac_f32_e32 v17, v37, v20
	v_fmac_f32_e32 v46, v39, v18
	v_fma_f32 v47, v39, v19, -v14
	buffer_load_dword v37, off, s[24:27], 0 offset:460 ; 4-byte Folded Reload
	buffer_load_dword v38, off, s[24:27], 0 offset:464 ; 4-byte Folded Reload
	;; [unrolled: 1-line block ×4, first 2 shown]
	s_waitcnt vmcnt(2)
	v_mul_f32_e32 v14, v38, v22
	v_mul_f32_e32 v48, v38, v23
	v_fma_f32 v49, v37, v23, -v14
	s_waitcnt vmcnt(0) lgkmcnt(2)
	v_mul_f32_e32 v50, v40, v25
	v_mul_f32_e32 v14, v40, v24
	v_fmac_f32_e32 v48, v37, v22
	v_fmac_f32_e32 v50, v39, v24
	v_fma_f32 v51, v39, v25, -v14
	buffer_load_dword v22, off, s[24:27], 0 offset:724 ; 4-byte Folded Reload
	buffer_load_dword v23, off, s[24:27], 0 offset:728 ; 4-byte Folded Reload
	;; [unrolled: 1-line block ×4, first 2 shown]
	s_waitcnt vmcnt(2) lgkmcnt(1)
	v_mul_f32_e32 v14, v23, v28
	v_mul_f32_e32 v89, v23, v29
	v_fma_f32 v56, v22, v29, -v14
	s_waitcnt vmcnt(0)
	v_mul_f32_e32 v57, v25, v27
	v_mul_f32_e32 v14, v25, v26
	v_fmac_f32_e32 v89, v22, v28
	v_fmac_f32_e32 v57, v24, v26
	v_fma_f32 v58, v24, v27, -v14
	buffer_load_dword v22, off, s[24:27], 0 offset:556 ; 4-byte Folded Reload
	buffer_load_dword v23, off, s[24:27], 0 offset:560 ; 4-byte Folded Reload
	;; [unrolled: 1-line block ×4, first 2 shown]
	s_waitcnt vmcnt(0) lgkmcnt(0)
	s_barrier
	v_mul_f32_e32 v14, v23, v30
	v_fma_f32 v90, v22, v31, -v14
	v_mul_f32_e32 v14, v25, v32
	v_mul_f32_e32 v91, v25, v33
	v_fma_f32 v110, v24, v33, -v14
	v_add_f32_e32 v14, v128, v34
	v_fmac_f32_e32 v91, v24, v32
	v_add_f32_e32 v24, v14, v36
	v_add_f32_e32 v14, v34, v36
	v_fma_f32 v26, -0.5, v14, v128
	v_sub_f32_e32 v14, v35, v0
	v_mov_b32_e32 v28, v26
	v_fmac_f32_e32 v28, 0xbf5db3d7, v14
	v_fmac_f32_e32 v26, 0x3f5db3d7, v14
	v_add_f32_e32 v14, v129, v35
	v_add_f32_e32 v25, v14, v0
	;; [unrolled: 1-line block ×3, first 2 shown]
	v_fma_f32 v27, -0.5, v0, v129
	v_sub_f32_e32 v0, v34, v36
	v_mov_b32_e32 v29, v27
	v_mul_f32_e32 v59, v23, v31
	v_fmac_f32_e32 v29, 0x3f5db3d7, v0
	v_fmac_f32_e32 v27, 0xbf5db3d7, v0
	v_add_f32_e32 v0, v130, v1
	v_fmac_f32_e32 v59, v22, v30
	v_add_f32_e32 v30, v0, v5
	v_add_f32_e32 v0, v1, v5
	v_fma_f32 v130, -0.5, v0, v130
	v_sub_f32_e32 v0, v4, v2
	v_mov_b32_e32 v32, v130
	v_fmac_f32_e32 v32, 0xbf5db3d7, v0
	v_fmac_f32_e32 v130, 0x3f5db3d7, v0
	v_add_f32_e32 v0, v131, v4
	v_add_f32_e32 v31, v0, v2
	v_add_f32_e32 v0, v4, v2
	v_fmac_f32_e32 v131, -0.5, v0
	v_sub_f32_e32 v0, v1, v5
	v_mov_b32_e32 v33, v131
	v_fmac_f32_e32 v33, 0x3f5db3d7, v0
	v_fmac_f32_e32 v131, 0xbf5db3d7, v0
	v_add_f32_e32 v0, v124, v3
	v_add_f32_e32 v34, v0, v7
	v_add_f32_e32 v0, v3, v7
	v_fma_f32 v36, -0.5, v0, v124
	v_sub_f32_e32 v0, v6, v8
	v_mov_b32_e32 v38, v36
	v_fmac_f32_e32 v38, 0xbf5db3d7, v0
	v_fmac_f32_e32 v36, 0x3f5db3d7, v0
	v_add_f32_e32 v0, v125, v6
	v_add_f32_e32 v35, v0, v8
	v_add_f32_e32 v0, v6, v8
	v_fma_f32 v37, -0.5, v0, v125
	v_sub_f32_e32 v0, v3, v7
	v_mov_b32_e32 v39, v37
	v_fmac_f32_e32 v39, 0x3f5db3d7, v0
	v_fmac_f32_e32 v37, 0xbf5db3d7, v0
	v_add_f32_e32 v0, v126, v9
	v_add_f32_e32 v40, v0, v13
	v_add_f32_e32 v0, v9, v13
	v_fma_f32 v126, -0.5, v0, v126
	v_sub_f32_e32 v0, v12, v10
	v_mov_b32_e32 v42, v126
	v_fmac_f32_e32 v42, 0xbf5db3d7, v0
	v_fmac_f32_e32 v126, 0x3f5db3d7, v0
	v_add_f32_e32 v0, v127, v12
	v_add_f32_e32 v41, v0, v10
	v_add_f32_e32 v0, v12, v10
	v_fmac_f32_e32 v127, -0.5, v0
	v_sub_f32_e32 v0, v9, v13
	v_mov_b32_e32 v43, v127
	v_fmac_f32_e32 v43, 0x3f5db3d7, v0
	v_fmac_f32_e32 v127, 0xbf5db3d7, v0
	v_add_f32_e32 v0, v116, v11
	v_add_f32_e32 v14, v0, v45
	v_add_f32_e32 v0, v11, v45
	v_fma_f32 v12, -0.5, v0, v116
	v_sub_f32_e32 v0, v44, v16
	v_mov_b32_e32 v22, v12
	v_fmac_f32_e32 v22, 0xbf5db3d7, v0
	v_fmac_f32_e32 v12, 0x3f5db3d7, v0
	v_add_f32_e32 v0, v117, v44
	v_add_f32_e32 v15, v0, v16
	v_add_f32_e32 v0, v44, v16
	v_fma_f32 v13, -0.5, v0, v117
	v_sub_f32_e32 v0, v11, v45
	v_mov_b32_e32 v23, v13
	v_fmac_f32_e32 v23, 0x3f5db3d7, v0
	v_fmac_f32_e32 v13, 0xbf5db3d7, v0
	v_add_f32_e32 v0, v118, v17
	;; [unrolled: 32-line block ×3, first 2 shown]
	v_add_f32_e32 v4, v0, v57
	v_add_f32_e32 v0, v89, v57
	v_fma_f32 v114, -0.5, v0, v114
	v_sub_f32_e32 v0, v56, v58
	v_mov_b32_e32 v6, v114
	v_fmac_f32_e32 v6, 0xbf5db3d7, v0
	v_fmac_f32_e32 v114, 0x3f5db3d7, v0
	v_add_f32_e32 v0, v115, v56
	v_add_f32_e32 v5, v0, v58
	;; [unrolled: 1-line block ×3, first 2 shown]
	v_fmac_f32_e32 v115, -0.5, v0
	v_sub_f32_e32 v0, v89, v57
	v_mov_b32_e32 v7, v115
	v_add_f32_e32 v1, v59, v91
	v_fmac_f32_e32 v7, 0x3f5db3d7, v0
	v_fmac_f32_e32 v115, 0xbf5db3d7, v0
	v_add_f32_e32 v0, v108, v59
	v_fma_f32 v108, -0.5, v1, v108
	v_sub_f32_e32 v1, v90, v110
	v_mov_b32_e32 v2, v108
	v_add_f32_e32 v3, v90, v110
	v_fmac_f32_e32 v2, 0xbf5db3d7, v1
	v_fmac_f32_e32 v108, 0x3f5db3d7, v1
	v_add_f32_e32 v1, v109, v90
	v_fmac_f32_e32 v109, -0.5, v3
	v_sub_f32_e32 v44, v59, v91
	v_mov_b32_e32 v3, v109
	v_fmac_f32_e32 v3, 0x3f5db3d7, v44
	v_fmac_f32_e32 v109, 0xbf5db3d7, v44
	buffer_load_dword v44, off, s[24:27], 0 offset:372 ; 4-byte Folded Reload
	s_waitcnt vmcnt(0)
	ds_write2_b64 v44, v[24:25], v[28:29] offset1:9
	ds_write_b64 v44, v[26:27] offset:144
	buffer_load_dword v24, off, s[24:27], 0 offset:500 ; 4-byte Folded Reload
	s_waitcnt vmcnt(0)
	ds_write2_b64 v24, v[30:31], v[32:33] offset1:9
	ds_write_b64 v24, v[130:131] offset:144
	;; [unrolled: 4-line block ×8, first 2 shown]
	buffer_load_dword v4, off, s[24:27], 0 offset:288 ; 4-byte Folded Reload
	v_add_f32_e32 v0, v0, v91
	v_add_f32_e32 v1, v1, v110
	s_waitcnt vmcnt(0)
	ds_write2_b64 v4, v[0:1], v[2:3] offset1:9
	ds_write_b64 v4, v[108:109] offset:144
	s_waitcnt lgkmcnt(0)
	s_barrier
	ds_read2_b64 v[20:23], v88 offset1:243
	ds_read2_b64 v[0:3], v147 offset0:8 offset1:251
	ds_read2_b64 v[12:15], v146 offset0:6 offset1:249
	ds_read2_b64 v[24:27], v145 offset0:6 offset1:249
	ds_read2_b64 v[16:19], v53 offset0:6 offset1:249
	ds_read2_b64 v[28:31], v139 offset0:12 offset1:255
	ds_read2_b64 v[32:35], v55 offset0:4 offset1:247
	ds_read2_b64 v[8:11], v54 offset0:12 offset1:255
	ds_read2_b64 v[36:39], v132 offset0:2 offset1:245
	ds_read2_b64 v[56:59], v137 offset0:10 offset1:253
	ds_read2_b64 v[4:7], v136 offset0:2 offset1:245
	ds_read2_b64 v[108:111], v135 offset0:8 offset1:251
	ds_read2_b64 v[112:115], v52 offset1:243
	ds_read_b64 v[40:41], v88 offset:50544
	buffer_load_dword v43, off, s[24:27], 0 offset:292 ; 4-byte Folded Reload
	buffer_load_dword v44, off, s[24:27], 0 offset:296 ; 4-byte Folded Reload
	;; [unrolled: 1-line block ×4, first 2 shown]
	v_mov_b32_e32 v126, v55
	v_mov_b32_e32 v117, v54
	s_waitcnt lgkmcnt(4)
	v_mul_f32_e32 v55, v65, v57
	v_fmac_f32_e32 v55, v64, v56
	v_mov_b32_e32 v118, v52
	v_mov_b32_e32 v128, v53
	s_waitcnt vmcnt(2)
	v_mul_f32_e32 v42, v44, v3
	v_fmac_f32_e32 v42, v43, v2
	v_mul_f32_e32 v2, v44, v2
	v_fma_f32 v2, v43, v3, -v2
	s_waitcnt vmcnt(0)
	v_mul_f32_e32 v3, v46, v13
	v_fmac_f32_e32 v3, v45, v12
	v_mul_f32_e32 v12, v46, v12
	v_fma_f32 v12, v45, v13, -v12
	buffer_load_dword v43, off, s[24:27], 0 offset:332 ; 4-byte Folded Reload
	buffer_load_dword v44, off, s[24:27], 0 offset:336 ; 4-byte Folded Reload
	buffer_load_dword v45, off, s[24:27], 0 offset:340 ; 4-byte Folded Reload
	buffer_load_dword v46, off, s[24:27], 0 offset:344 ; 4-byte Folded Reload
	s_waitcnt vmcnt(2)
	v_mul_f32_e32 v13, v44, v25
	v_fmac_f32_e32 v13, v43, v24
	v_mul_f32_e32 v24, v44, v24
	v_fma_f32 v24, v43, v25, -v24
	s_waitcnt vmcnt(0)
	v_mul_f32_e32 v25, v46, v15
	v_fmac_f32_e32 v25, v45, v14
	v_mul_f32_e32 v14, v46, v14
	v_fma_f32 v14, v45, v15, -v14
	buffer_load_dword v43, off, s[24:27], 0 offset:376 ; 4-byte Folded Reload
	buffer_load_dword v44, off, s[24:27], 0 offset:380 ; 4-byte Folded Reload
	buffer_load_dword v45, off, s[24:27], 0 offset:384 ; 4-byte Folded Reload
	buffer_load_dword v46, off, s[24:27], 0 offset:388 ; 4-byte Folded Reload
	;; [unrolled: 14-line block ×4, first 2 shown]
	s_waitcnt vmcnt(0) lgkmcnt(0)
	s_barrier
	v_mul_f32_e32 v31, v44, v34
	v_fma_f32 v90, v43, v35, -v31
	v_mul_f32_e32 v31, v46, v36
	v_fma_f32 v54, v45, v37, -v31
	;; [unrolled: 2-line block ×4, first 2 shown]
	v_mul_f32_e32 v65, v97, v59
	v_mul_f32_e32 v31, v97, v58
	;; [unrolled: 1-line block ×3, first 2 shown]
	v_fmac_f32_e32 v65, v96, v58
	v_fma_f32 v58, v96, v59, -v31
	v_mul_f32_e32 v31, v99, v108
	v_fmac_f32_e32 v57, v66, v38
	v_fma_f32 v66, v98, v109, -v31
	v_mul_f32_e32 v31, v105, v112
	v_mul_f32_e32 v59, v99, v109
	v_fma_f32 v96, v104, v113, -v31
	v_mul_f32_e32 v31, v107, v110
	v_fmac_f32_e32 v59, v98, v108
	v_fma_f32 v98, v106, v111, -v31
	v_mul_f32_e32 v99, v77, v115
	v_mul_f32_e32 v31, v77, v114
	v_fmac_f32_e32 v99, v76, v114
	v_fma_f32 v76, v76, v115, -v31
	v_mul_f32_e32 v77, v79, v41
	v_mul_f32_e32 v31, v79, v40
	;; [unrolled: 1-line block ×3, first 2 shown]
	v_fmac_f32_e32 v77, v78, v40
	v_fma_f32 v78, v78, v41, -v31
	v_add_f32_e32 v31, v20, v42
	v_fmac_f32_e32 v89, v43, v34
	v_mul_f32_e32 v91, v46, v37
	v_add_f32_e32 v34, v31, v3
	v_add_f32_e32 v31, v42, v3
	v_fmac_f32_e32 v91, v45, v36
	v_fma_f32 v36, -0.5, v31, v20
	v_sub_f32_e32 v20, v2, v12
	v_mov_b32_e32 v38, v36
	v_fmac_f32_e32 v38, 0xbf5db3d7, v20
	v_fmac_f32_e32 v36, 0x3f5db3d7, v20
	v_add_f32_e32 v20, v21, v2
	v_add_f32_e32 v2, v2, v12
	v_fma_f32 v37, -0.5, v2, v21
	v_sub_f32_e32 v2, v42, v3
	v_mov_b32_e32 v39, v37
	v_fmac_f32_e32 v39, 0x3f5db3d7, v2
	v_fmac_f32_e32 v37, 0xbf5db3d7, v2
	v_add_f32_e32 v2, v22, v13
	v_add_f32_e32 v40, v2, v25
	;; [unrolled: 1-line block ×3, first 2 shown]
	v_fma_f32 v22, -0.5, v2, v22
	v_sub_f32_e32 v2, v24, v14
	v_mov_b32_e32 v42, v22
	v_fmac_f32_e32 v42, 0xbf5db3d7, v2
	v_fmac_f32_e32 v22, 0x3f5db3d7, v2
	v_add_f32_e32 v2, v23, v24
	v_add_f32_e32 v41, v2, v14
	;; [unrolled: 1-line block ×3, first 2 shown]
	v_fmac_f32_e32 v23, -0.5, v2
	v_sub_f32_e32 v2, v13, v25
	v_mov_b32_e32 v43, v23
	v_fmac_f32_e32 v43, 0x3f5db3d7, v2
	v_fmac_f32_e32 v23, 0xbf5db3d7, v2
	v_add_f32_e32 v2, v16, v15
	v_add_f32_e32 v44, v2, v27
	v_add_f32_e32 v2, v15, v27
	v_fma_f32 v46, -0.5, v2, v16
	v_sub_f32_e32 v2, v26, v28
	v_mov_b32_e32 v48, v46
	v_fmac_f32_e32 v48, 0xbf5db3d7, v2
	v_fmac_f32_e32 v46, 0x3f5db3d7, v2
	v_add_f32_e32 v2, v17, v26
	v_add_f32_e32 v45, v2, v28
	v_add_f32_e32 v2, v26, v28
	v_fma_f32 v47, -0.5, v2, v17
	;; [unrolled: 8-line block ×3, first 2 shown]
	v_sub_f32_e32 v2, v32, v30
	v_mov_b32_e32 v52, v18
	v_fmac_f32_e32 v52, 0xbf5db3d7, v2
	v_fmac_f32_e32 v18, 0x3f5db3d7, v2
	v_add_f32_e32 v2, v19, v32
	v_add_f32_e32 v51, v2, v30
	;; [unrolled: 1-line block ×3, first 2 shown]
	v_fmac_f32_e32 v19, -0.5, v2
	v_sub_f32_e32 v2, v29, v33
	v_mov_b32_e32 v53, v19
	v_fmac_f32_e32 v53, 0x3f5db3d7, v2
	v_fmac_f32_e32 v19, 0xbf5db3d7, v2
	v_add_f32_e32 v2, v8, v89
	v_add_f32_e32 v30, v2, v91
	v_add_f32_e32 v2, v89, v91
	v_fma_f32 v28, -0.5, v2, v8
	v_sub_f32_e32 v2, v90, v54
	v_mov_b32_e32 v32, v28
	v_fmac_f32_e32 v32, 0xbf5db3d7, v2
	v_fmac_f32_e32 v28, 0x3f5db3d7, v2
	v_add_f32_e32 v2, v9, v90
	v_add_f32_e32 v31, v2, v54
	v_add_f32_e32 v2, v90, v54
	v_fma_f32 v29, -0.5, v2, v9
	;; [unrolled: 8-line block ×3, first 2 shown]
	v_sub_f32_e32 v2, v56, v64
	v_mov_b32_e32 v26, v10
	v_fmac_f32_e32 v26, 0xbf5db3d7, v2
	v_fmac_f32_e32 v10, 0x3f5db3d7, v2
	v_add_f32_e32 v2, v11, v56
	v_add_f32_e32 v25, v2, v64
	;; [unrolled: 1-line block ×3, first 2 shown]
	v_fmac_f32_e32 v11, -0.5, v2
	v_sub_f32_e32 v2, v55, v57
	v_mov_b32_e32 v27, v11
	v_fmac_f32_e32 v27, 0x3f5db3d7, v2
	v_fmac_f32_e32 v11, 0xbf5db3d7, v2
	v_add_f32_e32 v2, v4, v65
	v_add_f32_e32 v16, v2, v59
	;; [unrolled: 1-line block ×3, first 2 shown]
	v_fma_f32 v14, -0.5, v2, v4
	v_add_f32_e32 v35, v20, v12
	v_sub_f32_e32 v2, v58, v66
	v_mov_b32_e32 v20, v14
	v_fmac_f32_e32 v20, 0xbf5db3d7, v2
	v_fmac_f32_e32 v14, 0x3f5db3d7, v2
	v_add_f32_e32 v2, v5, v58
	v_add_f32_e32 v17, v2, v66
	;; [unrolled: 1-line block ×3, first 2 shown]
	v_mul_f32_e32 v67, v105, v113
	v_fma_f32 v15, -0.5, v2, v5
	v_fmac_f32_e32 v67, v104, v112
	v_mul_f32_e32 v97, v107, v111
	v_sub_f32_e32 v2, v65, v59
	v_mov_b32_e32 v21, v15
	v_fmac_f32_e32 v97, v106, v110
	v_fmac_f32_e32 v21, 0x3f5db3d7, v2
	;; [unrolled: 1-line block ×3, first 2 shown]
	v_add_f32_e32 v2, v6, v67
	v_add_f32_e32 v8, v2, v97
	;; [unrolled: 1-line block ×3, first 2 shown]
	v_fma_f32 v6, -0.5, v2, v6
	v_sub_f32_e32 v2, v96, v98
	v_mov_b32_e32 v12, v6
	v_fmac_f32_e32 v12, 0xbf5db3d7, v2
	v_fmac_f32_e32 v6, 0x3f5db3d7, v2
	v_add_f32_e32 v2, v7, v96
	v_add_f32_e32 v9, v2, v98
	;; [unrolled: 1-line block ×3, first 2 shown]
	v_fmac_f32_e32 v7, -0.5, v2
	v_sub_f32_e32 v2, v67, v97
	v_mov_b32_e32 v13, v7
	v_add_f32_e32 v3, v99, v77
	v_fmac_f32_e32 v13, 0x3f5db3d7, v2
	v_fmac_f32_e32 v7, 0xbf5db3d7, v2
	v_add_f32_e32 v2, v0, v99
	v_fma_f32 v0, -0.5, v3, v0
	v_sub_f32_e32 v3, v76, v78
	v_mov_b32_e32 v4, v0
	v_add_f32_e32 v5, v76, v78
	v_fmac_f32_e32 v4, 0xbf5db3d7, v3
	v_fmac_f32_e32 v0, 0x3f5db3d7, v3
	v_add_f32_e32 v3, v1, v76
	v_fmac_f32_e32 v1, -0.5, v5
	v_sub_f32_e32 v54, v99, v77
	v_mov_b32_e32 v5, v1
	v_fmac_f32_e32 v5, 0x3f5db3d7, v54
	v_fmac_f32_e32 v1, 0xbf5db3d7, v54
	buffer_load_dword v54, off, s[24:27], 0 offset:416 ; 4-byte Folded Reload
	s_waitcnt vmcnt(0)
	ds_write2_b64 v54, v[34:35], v[38:39] offset1:27
	ds_write_b64 v54, v[36:37] offset:432
	buffer_load_dword v34, off, s[24:27], 0 offset:420 ; 4-byte Folded Reload
	s_waitcnt vmcnt(0)
	ds_write2_b64 v34, v[40:41], v[42:43] offset1:27
	ds_write_b64 v34, v[22:23] offset:432
	;; [unrolled: 4-line block ×8, first 2 shown]
	buffer_load_dword v6, off, s[24:27], 0 offset:480 ; 4-byte Folded Reload
	v_add_f32_e32 v2, v2, v77
	v_add_f32_e32 v3, v3, v78
	s_waitcnt vmcnt(0)
	ds_write2_b64 v6, v[2:3], v[4:5] offset1:27
	ds_write_b64 v6, v[0:1] offset:432
	s_waitcnt lgkmcnt(0)
	s_barrier
	ds_read2_b64 v[16:19], v88 offset1:243
	ds_read2_b64 v[0:3], v147 offset0:8 offset1:251
	ds_read2_b64 v[20:23], v146 offset0:6 offset1:249
	;; [unrolled: 1-line block ×11, first 2 shown]
	ds_read2_b64 v[56:59], v118 offset1:243
	ds_read_b64 v[44:45], v88 offset:50544
	buffer_load_dword v64, off, s[24:27], 0 offset:524 ; 4-byte Folded Reload
	buffer_load_dword v65, off, s[24:27], 0 offset:528 ; 4-byte Folded Reload
	;; [unrolled: 1-line block ×4, first 2 shown]
	s_waitcnt lgkmcnt(2)
	v_mul_f32_e32 v46, v63, v52
	s_waitcnt vmcnt(2)
	v_mul_f32_e32 v49, v65, v3
	v_fmac_f32_e32 v49, v64, v2
	v_mul_f32_e32 v2, v65, v2
	v_fma_f32 v2, v64, v3, -v2
	s_waitcnt vmcnt(0)
	v_mul_f32_e32 v3, v67, v21
	v_fmac_f32_e32 v3, v66, v20
	v_mul_f32_e32 v20, v67, v20
	v_fma_f32 v20, v66, v21, -v20
	buffer_load_dword v64, off, s[24:27], 0 offset:508 ; 4-byte Folded Reload
	buffer_load_dword v65, off, s[24:27], 0 offset:512 ; 4-byte Folded Reload
	;; [unrolled: 1-line block ×4, first 2 shown]
	s_waitcnt vmcnt(0) lgkmcnt(0)
	s_barrier
	v_mul_f32_e32 v21, v65, v25
	v_fmac_f32_e32 v21, v64, v24
	v_mul_f32_e32 v24, v65, v24
	v_fma_f32 v24, v64, v25, -v24
	v_mul_f32_e32 v25, v67, v23
	v_fmac_f32_e32 v25, v66, v22
	v_mul_f32_e32 v22, v67, v22
	v_fma_f32 v22, v66, v23, -v22
	;; [unrolled: 4-line block ×11, first 2 shown]
	v_fma_f32 v60, v62, v53, -v46
	v_mul_f32_e32 v61, v93, v57
	v_mul_f32_e32 v46, v93, v56
	v_fmac_f32_e32 v61, v92, v56
	v_fma_f32 v56, v92, v57, -v46
	v_mul_f32_e32 v57, v95, v55
	v_mul_f32_e32 v46, v95, v54
	v_fmac_f32_e32 v57, v94, v54
	;; [unrolled: 4-line block ×4, first 2 shown]
	v_mul_f32_e32 v44, v103, v44
	v_fmac_f32_e32 v43, v62, v52
	v_fma_f32 v62, v102, v45, -v44
	v_add_f32_e32 v45, v49, v3
	v_fma_f32 v46, -0.5, v45, v16
	v_add_f32_e32 v44, v16, v49
	v_sub_f32_e32 v16, v2, v20
	v_mov_b32_e32 v48, v46
	v_fmac_f32_e32 v48, 0xbf5db3d7, v16
	v_fmac_f32_e32 v46, 0x3f5db3d7, v16
	v_add_f32_e32 v16, v17, v2
	v_add_f32_e32 v2, v2, v20
	v_fma_f32 v47, -0.5, v2, v17
	v_sub_f32_e32 v2, v49, v3
	v_mov_b32_e32 v49, v47
	v_fmac_f32_e32 v49, 0x3f5db3d7, v2
	v_fmac_f32_e32 v47, 0xbf5db3d7, v2
	v_add_f32_e32 v2, v18, v21
	v_add_f32_e32 v50, v2, v25
	;; [unrolled: 1-line block ×3, first 2 shown]
	v_fma_f32 v18, -0.5, v2, v18
	v_sub_f32_e32 v2, v24, v22
	v_mov_b32_e32 v52, v18
	v_fmac_f32_e32 v52, 0xbf5db3d7, v2
	v_fmac_f32_e32 v18, 0x3f5db3d7, v2
	v_add_f32_e32 v2, v19, v24
	v_add_f32_e32 v51, v2, v22
	;; [unrolled: 1-line block ×3, first 2 shown]
	v_fmac_f32_e32 v19, -0.5, v2
	v_sub_f32_e32 v2, v21, v25
	v_mov_b32_e32 v53, v19
	v_fmac_f32_e32 v53, 0x3f5db3d7, v2
	v_fmac_f32_e32 v19, 0xbf5db3d7, v2
	v_add_f32_e32 v2, v12, v23
	v_add_f32_e32 v45, v16, v20
	;; [unrolled: 1-line block ×4, first 2 shown]
	v_fma_f32 v2, -0.5, v2, v12
	v_add_f32_e32 v44, v44, v3
	v_sub_f32_e32 v3, v26, v28
	v_mov_b32_e32 v12, v2
	v_fmac_f32_e32 v12, 0xbf5db3d7, v3
	v_fmac_f32_e32 v2, 0x3f5db3d7, v3
	v_add_f32_e32 v3, v13, v26
	v_add_f32_e32 v17, v3, v28
	;; [unrolled: 1-line block ×3, first 2 shown]
	v_fma_f32 v3, -0.5, v3, v13
	v_sub_f32_e32 v20, v23, v27
	v_mov_b32_e32 v13, v3
	v_add_f32_e32 v21, v29, v33
	v_fmac_f32_e32 v13, 0x3f5db3d7, v20
	v_fmac_f32_e32 v3, 0xbf5db3d7, v20
	v_add_f32_e32 v20, v14, v29
	v_fma_f32 v14, -0.5, v21, v14
	v_sub_f32_e32 v21, v32, v30
	v_mov_b32_e32 v22, v14
	v_add_f32_e32 v23, v32, v30
	v_fmac_f32_e32 v22, 0xbf5db3d7, v21
	v_fmac_f32_e32 v14, 0x3f5db3d7, v21
	v_add_f32_e32 v21, v15, v32
	v_fmac_f32_e32 v15, -0.5, v23
	v_sub_f32_e32 v24, v29, v33
	v_mov_b32_e32 v23, v15
	v_add_f32_e32 v25, v31, v35
	v_fmac_f32_e32 v23, 0x3f5db3d7, v24
	v_fmac_f32_e32 v15, 0xbf5db3d7, v24
	v_add_f32_e32 v24, v8, v31
	v_fma_f32 v8, -0.5, v25, v8
	v_sub_f32_e32 v25, v34, v36
	v_mov_b32_e32 v26, v8
	v_add_f32_e32 v27, v34, v36
	v_fmac_f32_e32 v26, 0xbf5db3d7, v25
	v_fmac_f32_e32 v8, 0x3f5db3d7, v25
	v_add_f32_e32 v25, v9, v34
	v_fma_f32 v9, -0.5, v27, v9
	;; [unrolled: 7-line block ×3, first 2 shown]
	v_add_f32_e32 v21, v21, v30
	v_sub_f32_e32 v29, v40, v38
	v_mov_b32_e32 v30, v10
	v_add_f32_e32 v31, v40, v38
	v_fmac_f32_e32 v30, 0xbf5db3d7, v29
	v_fmac_f32_e32 v10, 0x3f5db3d7, v29
	v_add_f32_e32 v29, v11, v40
	v_fmac_f32_e32 v11, -0.5, v31
	v_add_f32_e32 v20, v20, v33
	v_sub_f32_e32 v32, v37, v41
	v_mov_b32_e32 v31, v11
	v_add_f32_e32 v33, v39, v43
	v_fmac_f32_e32 v31, 0x3f5db3d7, v32
	v_fmac_f32_e32 v11, 0xbf5db3d7, v32
	v_add_f32_e32 v32, v4, v39
	v_fma_f32 v4, -0.5, v33, v4
	v_add_f32_e32 v24, v24, v35
	v_sub_f32_e32 v33, v42, v60
	v_mov_b32_e32 v34, v4
	v_add_f32_e32 v35, v42, v60
	v_fmac_f32_e32 v34, 0xbf5db3d7, v33
	v_fmac_f32_e32 v4, 0x3f5db3d7, v33
	v_add_f32_e32 v33, v5, v42
	v_fma_f32 v5, -0.5, v35, v5
	;; [unrolled: 8-line block ×3, first 2 shown]
	v_add_f32_e32 v29, v29, v38
	v_sub_f32_e32 v37, v56, v54
	v_mov_b32_e32 v38, v6
	v_add_f32_e32 v39, v56, v54
	v_fmac_f32_e32 v38, 0xbf5db3d7, v37
	v_fmac_f32_e32 v6, 0x3f5db3d7, v37
	v_add_f32_e32 v37, v7, v56
	v_fmac_f32_e32 v7, -0.5, v39
	v_add_f32_e32 v28, v28, v41
	v_sub_f32_e32 v40, v61, v57
	v_mov_b32_e32 v39, v7
	v_add_f32_e32 v41, v55, v59
	v_fmac_f32_e32 v39, 0x3f5db3d7, v40
	v_fmac_f32_e32 v7, 0xbf5db3d7, v40
	v_add_f32_e32 v40, v0, v55
	v_fma_f32 v0, -0.5, v41, v0
	v_add_f32_e32 v32, v32, v43
	v_sub_f32_e32 v41, v58, v62
	v_mov_b32_e32 v42, v0
	v_add_f32_e32 v43, v58, v62
	v_fmac_f32_e32 v42, 0xbf5db3d7, v41
	v_fmac_f32_e32 v0, 0x3f5db3d7, v41
	v_add_f32_e32 v41, v1, v58
	v_fmac_f32_e32 v1, -0.5, v43
	v_add_f32_e32 v37, v37, v54
	v_sub_f32_e32 v54, v55, v59
	v_mov_b32_e32 v43, v1
	v_fmac_f32_e32 v43, 0x3f5db3d7, v54
	v_fmac_f32_e32 v1, 0xbf5db3d7, v54
	buffer_load_dword v54, off, s[24:27], 0 offset:588 ; 4-byte Folded Reload
	s_waitcnt vmcnt(0)
	ds_write2_b64 v54, v[44:45], v[48:49] offset1:81
	ds_write_b64 v54, v[46:47] offset:1296
	buffer_load_dword v44, off, s[24:27], 0 offset:552 ; 4-byte Folded Reload
	s_waitcnt vmcnt(0)
	ds_write2_b64 v44, v[50:51], v[52:53] offset1:81
	ds_write_b64 v44, v[18:19] offset:1296
	;; [unrolled: 4-line block ×6, first 2 shown]
	buffer_load_dword v2, off, s[24:27], 0 offset:580 ; 4-byte Folded Reload
	v_add_f32_e32 v33, v33, v60
	s_waitcnt vmcnt(0)
	ds_write2_b64 v2, v[32:33], v[34:35] offset1:81
	ds_write_b64 v2, v[4:5] offset:1296
	buffer_load_dword v2, off, s[24:27], 0 offset:596 ; 4-byte Folded Reload
	v_add_f32_e32 v36, v36, v57
	s_waitcnt vmcnt(0)
	ds_write2_b64 v2, v[36:37], v[38:39] offset1:81
	ds_write_b64 v2, v[6:7] offset:1296
	buffer_load_dword v2, off, s[24:27], 0 offset:604 ; 4-byte Folded Reload
	v_add_f32_e32 v40, v40, v59
	v_add_f32_e32 v41, v41, v62
	s_waitcnt vmcnt(0)
	ds_write2_b64 v2, v[40:41], v[42:43] offset1:81
	ds_write_b64 v2, v[0:1] offset:1296
	s_waitcnt lgkmcnt(0)
	s_barrier
	ds_read2_b64 v[0:3], v88 offset1:243
	ds_read2_b64 v[4:7], v147 offset0:8 offset1:251
	ds_read2_b64 v[8:11], v146 offset0:6 offset1:249
	;; [unrolled: 1-line block ×11, first 2 shown]
	ds_read2_b64 v[52:55], v118 offset1:243
	ds_read_b64 v[44:45], v88 offset:50544
	s_waitcnt lgkmcnt(12)
	v_mul_f32_e32 v46, v121, v7
	v_fmac_f32_e32 v46, v120, v6
	v_mul_f32_e32 v6, v121, v6
	v_fma_f32 v47, v120, v7, -v6
	s_waitcnt lgkmcnt(11)
	v_mul_f32_e32 v6, v123, v8
	v_mul_f32_e32 v56, v123, v9
	v_fma_f32 v9, v122, v9, -v6
	s_waitcnt lgkmcnt(10)
	v_mul_f32_e32 v6, v121, v12
	v_mul_f32_e32 v57, v121, v13
	v_fma_f32 v13, v120, v13, -v6
	v_mul_f32_e32 v6, v123, v10
	v_fma_f32 v59, v122, v11, -v6
	v_mul_f32_e32 v6, v141, v14
	v_fma_f32 v61, v140, v15, -v6
	s_waitcnt lgkmcnt(8)
	v_mul_f32_e32 v6, v143, v20
	v_mul_f32_e32 v62, v143, v21
	v_fma_f32 v21, v142, v21, -v6
	s_waitcnt lgkmcnt(7)
	v_mul_f32_e32 v6, v153, v24
	v_mul_f32_e32 v63, v153, v25
	v_fma_f32 v25, v152, v25, -v6
	v_mul_f32_e32 v6, v155, v22
	v_fma_f32 v65, v154, v23, -v6
	;; [unrolled: 12-line block ×3, first 2 shown]
	v_mul_f32_e32 v6, v165, v38
	v_fma_f32 v73, v164, v39, -v6
	s_waitcnt lgkmcnt(2)
	v_mul_f32_e32 v74, v167, v49
	v_mul_f32_e32 v6, v167, v48
	v_fmac_f32_e32 v74, v166, v48
	v_fma_f32 v48, v166, v49, -v6
	s_waitcnt lgkmcnt(1)
	v_mul_f32_e32 v49, v169, v53
	v_mul_f32_e32 v6, v169, v52
	v_fmac_f32_e32 v49, v168, v52
	v_fma_f32 v52, v168, v53, -v6
	v_mul_f32_e32 v53, v171, v51
	v_mul_f32_e32 v6, v171, v50
	v_fmac_f32_e32 v56, v122, v8
	v_fmac_f32_e32 v53, v170, v50
	v_fma_f32 v50, v170, v51, -v6
	v_mul_f32_e32 v75, v173, v55
	v_mul_f32_e32 v6, v173, v54
	v_fmac_f32_e32 v75, v172, v54
	v_fma_f32 v54, v172, v55, -v6
	s_waitcnt lgkmcnt(0)
	v_mul_f32_e32 v6, v175, v44
	v_add_f32_e32 v7, v46, v56
	v_fma_f32 v76, v174, v45, -v6
	v_add_f32_e32 v6, v0, v46
	v_fma_f32 v0, -0.5, v7, v0
	v_sub_f32_e32 v7, v47, v9
	v_mov_b32_e32 v8, v0
	v_fmac_f32_e32 v8, 0xbf5db3d7, v7
	v_fmac_f32_e32 v0, 0x3f5db3d7, v7
	v_add_f32_e32 v7, v1, v47
	v_mul_f32_e32 v58, v123, v11
	v_add_f32_e32 v7, v7, v9
	v_add_f32_e32 v9, v47, v9
	v_fmac_f32_e32 v57, v120, v12
	v_fmac_f32_e32 v58, v122, v10
	v_fma_f32 v1, -0.5, v9, v1
	v_sub_f32_e32 v10, v46, v56
	v_mov_b32_e32 v9, v1
	v_add_f32_e32 v11, v57, v58
	v_fmac_f32_e32 v9, 0x3f5db3d7, v10
	v_fmac_f32_e32 v1, 0xbf5db3d7, v10
	v_add_f32_e32 v10, v2, v57
	v_fma_f32 v2, -0.5, v11, v2
	v_sub_f32_e32 v11, v13, v59
	v_mov_b32_e32 v12, v2
	v_fmac_f32_e32 v12, 0xbf5db3d7, v11
	v_fmac_f32_e32 v2, 0x3f5db3d7, v11
	v_add_f32_e32 v11, v3, v13
	v_add_f32_e32 v13, v13, v59
	v_mul_f32_e32 v60, v141, v15
	v_fmac_f32_e32 v3, -0.5, v13
	v_fmac_f32_e32 v60, v140, v14
	v_add_f32_e32 v6, v6, v56
	v_sub_f32_e32 v14, v57, v58
	v_mov_b32_e32 v13, v3
	v_add_f32_e32 v10, v10, v58
	v_add_f32_e32 v11, v11, v59
	v_fmac_f32_e32 v13, 0x3f5db3d7, v14
	v_fmac_f32_e32 v3, 0xbf5db3d7, v14
	s_barrier
	ds_write2_b64 v88, v[6:7], v[8:9] offset1:243
	ds_write2_b64 v128, v[0:1], v[10:11] offset0:6 offset1:249
	ds_write2_b64 v117, v[12:13], v[2:3] offset0:12 offset1:255
	buffer_load_dword v0, off, s[24:27], 0 offset:636 ; 4-byte Folded Reload
	v_fmac_f32_e32 v62, v142, v20
	v_add_f32_e32 v15, v60, v62
	v_add_f32_e32 v14, v16, v60
	v_fma_f32 v16, -0.5, v15, v16
	v_sub_f32_e32 v15, v61, v21
	v_mov_b32_e32 v20, v16
	v_fmac_f32_e32 v20, 0xbf5db3d7, v15
	v_fmac_f32_e32 v16, 0x3f5db3d7, v15
	v_add_f32_e32 v15, v17, v61
	v_add_f32_e32 v15, v15, v21
	;; [unrolled: 1-line block ×3, first 2 shown]
	v_mul_f32_e32 v64, v155, v23
	v_fma_f32 v17, -0.5, v21, v17
	v_fmac_f32_e32 v64, v154, v22
	v_sub_f32_e32 v22, v60, v62
	v_mov_b32_e32 v21, v17
	v_add_f32_e32 v14, v14, v62
	v_fmac_f32_e32 v21, 0x3f5db3d7, v22
	v_fmac_f32_e32 v17, 0xbf5db3d7, v22
	;; [unrolled: 1-line block ×3, first 2 shown]
	v_add_f32_e32 v23, v63, v64
	v_add_f32_e32 v22, v18, v63
	v_fma_f32 v18, -0.5, v23, v18
	v_sub_f32_e32 v23, v25, v65
	v_mov_b32_e32 v24, v18
	v_fmac_f32_e32 v24, 0xbf5db3d7, v23
	v_fmac_f32_e32 v18, 0x3f5db3d7, v23
	v_add_f32_e32 v23, v19, v25
	v_add_f32_e32 v25, v25, v65
	v_mul_f32_e32 v66, v157, v27
	v_fmac_f32_e32 v19, -0.5, v25
	v_fmac_f32_e32 v66, v156, v26
	v_sub_f32_e32 v26, v63, v64
	v_mov_b32_e32 v25, v19
	v_add_f32_e32 v22, v22, v64
	v_add_f32_e32 v23, v23, v65
	v_fmac_f32_e32 v25, 0x3f5db3d7, v26
	v_fmac_f32_e32 v19, 0xbf5db3d7, v26
	;; [unrolled: 1-line block ×3, first 2 shown]
	v_add_f32_e32 v27, v66, v68
	v_add_f32_e32 v26, v28, v66
	v_fma_f32 v28, -0.5, v27, v28
	v_sub_f32_e32 v27, v67, v33
	v_mov_b32_e32 v32, v28
	v_fmac_f32_e32 v32, 0xbf5db3d7, v27
	v_fmac_f32_e32 v28, 0x3f5db3d7, v27
	v_add_f32_e32 v27, v29, v67
	v_add_f32_e32 v27, v27, v33
	;; [unrolled: 1-line block ×3, first 2 shown]
	v_mul_f32_e32 v70, v163, v35
	v_fma_f32 v29, -0.5, v33, v29
	v_fmac_f32_e32 v70, v162, v34
	v_sub_f32_e32 v34, v66, v68
	v_mov_b32_e32 v33, v29
	v_add_f32_e32 v26, v26, v68
	v_fmac_f32_e32 v33, 0x3f5db3d7, v34
	v_fmac_f32_e32 v29, 0xbf5db3d7, v34
	v_fmac_f32_e32 v69, v160, v36
	v_add_f32_e32 v35, v69, v70
	v_add_f32_e32 v34, v30, v69
	v_fma_f32 v30, -0.5, v35, v30
	v_sub_f32_e32 v35, v37, v71
	v_mov_b32_e32 v36, v30
	v_fmac_f32_e32 v36, 0xbf5db3d7, v35
	v_fmac_f32_e32 v30, 0x3f5db3d7, v35
	v_add_f32_e32 v35, v31, v37
	v_add_f32_e32 v37, v37, v71
	v_mul_f32_e32 v72, v165, v39
	v_fmac_f32_e32 v31, -0.5, v37
	v_fmac_f32_e32 v72, v164, v38
	v_sub_f32_e32 v38, v69, v70
	v_mov_b32_e32 v37, v31
	v_add_f32_e32 v34, v34, v70
	v_add_f32_e32 v35, v35, v71
	v_fmac_f32_e32 v37, 0x3f5db3d7, v38
	v_fmac_f32_e32 v31, 0xbf5db3d7, v38
	v_add_f32_e32 v39, v72, v74
	v_mul_f32_e32 v55, v175, v45
	v_add_f32_e32 v38, v40, v72
	s_waitcnt vmcnt(0)
	ds_write2_b64 v0, v[14:15], v[20:21] offset0:2 offset1:245
	buffer_load_dword v0, off, s[24:27], 0 offset:632 ; 4-byte Folded Reload
	v_fma_f32 v40, -0.5, v39, v40
	v_fmac_f32_e32 v55, v174, v44
	v_sub_f32_e32 v39, v73, v48
	v_mov_b32_e32 v44, v40
	v_add_f32_e32 v45, v73, v48
	v_fmac_f32_e32 v44, 0xbf5db3d7, v39
	v_fmac_f32_e32 v40, 0x3f5db3d7, v39
	v_add_f32_e32 v39, v41, v73
	v_fma_f32 v41, -0.5, v45, v41
	v_sub_f32_e32 v46, v72, v74
	v_mov_b32_e32 v45, v41
	v_add_f32_e32 v38, v38, v74
	v_add_f32_e32 v39, v39, v48
	v_fmac_f32_e32 v45, 0x3f5db3d7, v46
	v_fmac_f32_e32 v41, 0xbf5db3d7, v46
	v_add_f32_e32 v47, v49, v53
	v_add_f32_e32 v46, v42, v49
	v_fma_f32 v42, -0.5, v47, v42
	v_sub_f32_e32 v47, v52, v50
	v_mov_b32_e32 v48, v42
	v_fmac_f32_e32 v48, 0xbf5db3d7, v47
	v_fmac_f32_e32 v42, 0x3f5db3d7, v47
	v_add_f32_e32 v47, v43, v52
	v_add_f32_e32 v47, v47, v50
	;; [unrolled: 1-line block ×3, first 2 shown]
	v_fmac_f32_e32 v43, -0.5, v50
	v_sub_f32_e32 v50, v49, v53
	v_mov_b32_e32 v49, v43
	v_add_f32_e32 v46, v46, v53
	v_fmac_f32_e32 v49, 0x3f5db3d7, v50
	v_fmac_f32_e32 v43, 0xbf5db3d7, v50
	v_add_f32_e32 v51, v75, v55
	v_add_f32_e32 v50, v4, v75
	v_fma_f32 v4, -0.5, v51, v4
	v_sub_f32_e32 v51, v54, v76
	v_mov_b32_e32 v52, v4
	v_add_f32_e32 v53, v54, v76
	v_fmac_f32_e32 v52, 0xbf5db3d7, v51
	v_fmac_f32_e32 v4, 0x3f5db3d7, v51
	v_add_f32_e32 v51, v5, v54
	v_fmac_f32_e32 v5, -0.5, v53
	v_sub_f32_e32 v54, v75, v55
	v_mov_b32_e32 v53, v5
	v_add_f32_e32 v50, v50, v55
	v_add_f32_e32 v51, v51, v76
	v_fmac_f32_e32 v53, 0x3f5db3d7, v54
	v_fmac_f32_e32 v5, 0xbf5db3d7, v54
	s_waitcnt vmcnt(0)
	ds_write_b64 v0, v[16:17] offset:15552
	buffer_load_dword v0, off, s[24:27], 0 offset:640 ; 4-byte Folded Reload
	s_waitcnt vmcnt(0)
	ds_write2_b64 v0, v[22:23], v[24:25] offset0:11 offset1:254
	buffer_load_dword v0, off, s[24:27], 0 offset:644 ; 4-byte Folded Reload
	s_waitcnt vmcnt(0)
	ds_write_b64 v0, v[18:19] offset:21384
	buffer_load_dword v0, off, s[24:27], 0 offset:652 ; 4-byte Folded Reload
	s_waitcnt vmcnt(0)
	ds_write2_b64 v0, v[26:27], v[32:33] offset0:4 offset1:247
	buffer_load_dword v0, off, s[24:27], 0 offset:648 ; 4-byte Folded Reload
	;; [unrolled: 6-line block ×6, first 2 shown]
	s_waitcnt vmcnt(0)
	ds_write_b64 v0, v[4:5] offset:50544
	s_waitcnt lgkmcnt(0)
	s_barrier
	ds_read2_b64 v[0:3], v88 offset1:243
	ds_read2_b64 v[4:7], v147 offset0:8 offset1:251
	ds_read2_b64 v[8:11], v146 offset0:6 offset1:249
	;; [unrolled: 1-line block ×11, first 2 shown]
	ds_read2_b64 v[52:55], v118 offset1:243
	ds_read_b64 v[44:45], v88 offset:50544
	s_waitcnt lgkmcnt(12)
	v_mul_f32_e32 v46, v177, v7
	v_fmac_f32_e32 v46, v176, v6
	v_mul_f32_e32 v6, v177, v6
	v_fma_f32 v47, v176, v7, -v6
	s_waitcnt lgkmcnt(11)
	v_mul_f32_e32 v6, v179, v8
	v_mul_f32_e32 v56, v179, v9
	v_fma_f32 v9, v178, v9, -v6
	s_waitcnt lgkmcnt(10)
	v_mul_f32_e32 v6, v181, v12
	v_mul_f32_e32 v57, v181, v13
	v_fma_f32 v13, v180, v13, -v6
	v_mul_f32_e32 v6, v183, v10
	v_fma_f32 v59, v182, v11, -v6
	v_mul_f32_e32 v6, v185, v14
	v_fma_f32 v61, v184, v15, -v6
	s_waitcnt lgkmcnt(8)
	v_mul_f32_e32 v6, v187, v20
	v_mul_f32_e32 v62, v187, v21
	v_fma_f32 v21, v186, v21, -v6
	s_waitcnt lgkmcnt(7)
	v_mul_f32_e32 v6, v177, v24
	v_mul_f32_e32 v63, v177, v25
	v_fma_f32 v25, v176, v25, -v6
	v_mul_f32_e32 v6, v179, v22
	v_fma_f32 v65, v178, v23, -v6
	;; [unrolled: 12-line block ×3, first 2 shown]
	v_mul_f32_e32 v6, v189, v38
	v_fma_f32 v73, v188, v39, -v6
	s_waitcnt lgkmcnt(2)
	v_mul_f32_e32 v74, v191, v49
	v_mul_f32_e32 v6, v191, v48
	v_fmac_f32_e32 v74, v190, v48
	v_fma_f32 v48, v190, v49, -v6
	s_waitcnt lgkmcnt(1)
	v_mul_f32_e32 v49, v193, v53
	v_mul_f32_e32 v6, v193, v52
	v_fmac_f32_e32 v49, v192, v52
	v_fma_f32 v52, v192, v53, -v6
	v_mul_f32_e32 v53, v195, v51
	v_mul_f32_e32 v6, v195, v50
	v_fmac_f32_e32 v56, v178, v8
	v_fmac_f32_e32 v53, v194, v50
	v_fma_f32 v50, v194, v51, -v6
	v_mul_f32_e32 v75, v197, v55
	v_mul_f32_e32 v6, v197, v54
	v_fmac_f32_e32 v75, v196, v54
	v_fma_f32 v54, v196, v55, -v6
	s_waitcnt lgkmcnt(0)
	v_mul_f32_e32 v6, v199, v44
	v_add_f32_e32 v7, v46, v56
	v_fma_f32 v76, v198, v45, -v6
	v_add_f32_e32 v6, v0, v46
	v_fma_f32 v0, -0.5, v7, v0
	v_sub_f32_e32 v7, v47, v9
	v_mov_b32_e32 v8, v0
	v_fmac_f32_e32 v8, 0xbf5db3d7, v7
	v_fmac_f32_e32 v0, 0x3f5db3d7, v7
	v_add_f32_e32 v7, v1, v47
	v_mul_f32_e32 v58, v183, v11
	v_add_f32_e32 v7, v7, v9
	v_add_f32_e32 v9, v47, v9
	v_fmac_f32_e32 v57, v180, v12
	v_fmac_f32_e32 v58, v182, v10
	v_fma_f32 v1, -0.5, v9, v1
	v_sub_f32_e32 v10, v46, v56
	v_mov_b32_e32 v9, v1
	v_add_f32_e32 v11, v57, v58
	v_fmac_f32_e32 v9, 0x3f5db3d7, v10
	v_fmac_f32_e32 v1, 0xbf5db3d7, v10
	v_add_f32_e32 v10, v2, v57
	v_fma_f32 v2, -0.5, v11, v2
	v_sub_f32_e32 v11, v13, v59
	v_mov_b32_e32 v12, v2
	v_mul_f32_e32 v60, v185, v15
	v_fmac_f32_e32 v12, 0xbf5db3d7, v11
	v_fmac_f32_e32 v2, 0x3f5db3d7, v11
	v_add_f32_e32 v11, v3, v13
	v_add_f32_e32 v13, v13, v59
	v_fmac_f32_e32 v60, v184, v14
	v_fmac_f32_e32 v62, v186, v20
	v_fmac_f32_e32 v3, -0.5, v13
	v_sub_f32_e32 v14, v57, v58
	v_mov_b32_e32 v13, v3
	v_add_f32_e32 v15, v60, v62
	v_fmac_f32_e32 v13, 0x3f5db3d7, v14
	v_fmac_f32_e32 v3, 0xbf5db3d7, v14
	v_add_f32_e32 v14, v16, v60
	v_fma_f32 v16, -0.5, v15, v16
	v_sub_f32_e32 v15, v61, v21
	v_mov_b32_e32 v20, v16
	v_fmac_f32_e32 v20, 0xbf5db3d7, v15
	v_fmac_f32_e32 v16, 0x3f5db3d7, v15
	v_add_f32_e32 v15, v17, v61
	v_mul_f32_e32 v64, v179, v23
	v_add_f32_e32 v15, v15, v21
	v_add_f32_e32 v21, v61, v21
	v_fmac_f32_e32 v63, v176, v24
	v_fmac_f32_e32 v64, v178, v22
	v_fma_f32 v17, -0.5, v21, v17
	v_sub_f32_e32 v22, v60, v62
	v_mov_b32_e32 v21, v17
	v_add_f32_e32 v23, v63, v64
	v_fmac_f32_e32 v21, 0x3f5db3d7, v22
	v_fmac_f32_e32 v17, 0xbf5db3d7, v22
	v_add_f32_e32 v22, v18, v63
	v_fma_f32 v18, -0.5, v23, v18
	v_sub_f32_e32 v23, v25, v65
	v_mov_b32_e32 v24, v18
	v_mul_f32_e32 v66, v181, v27
	v_fmac_f32_e32 v24, 0xbf5db3d7, v23
	v_fmac_f32_e32 v18, 0x3f5db3d7, v23
	v_add_f32_e32 v23, v19, v25
	v_add_f32_e32 v25, v25, v65
	v_fmac_f32_e32 v66, v180, v26
	v_fmac_f32_e32 v68, v182, v32
	v_fmac_f32_e32 v19, -0.5, v25
	v_sub_f32_e32 v26, v63, v64
	v_mov_b32_e32 v25, v19
	v_add_f32_e32 v27, v66, v68
	v_fmac_f32_e32 v25, 0x3f5db3d7, v26
	v_fmac_f32_e32 v19, 0xbf5db3d7, v26
	v_add_f32_e32 v26, v28, v66
	v_fma_f32 v28, -0.5, v27, v28
	v_sub_f32_e32 v27, v67, v33
	v_mov_b32_e32 v32, v28
	v_fmac_f32_e32 v32, 0xbf5db3d7, v27
	v_fmac_f32_e32 v28, 0x3f5db3d7, v27
	v_add_f32_e32 v27, v29, v67
	v_mul_f32_e32 v70, v187, v35
	v_add_f32_e32 v27, v27, v33
	v_add_f32_e32 v33, v67, v33
	v_fmac_f32_e32 v69, v184, v36
	v_fmac_f32_e32 v70, v186, v34
	v_fma_f32 v29, -0.5, v33, v29
	v_sub_f32_e32 v34, v66, v68
	v_mov_b32_e32 v33, v29
	v_add_f32_e32 v35, v69, v70
	v_fmac_f32_e32 v33, 0x3f5db3d7, v34
	v_fmac_f32_e32 v29, 0xbf5db3d7, v34
	v_add_f32_e32 v34, v30, v69
	v_fma_f32 v30, -0.5, v35, v30
	v_sub_f32_e32 v35, v37, v71
	v_mov_b32_e32 v36, v30
	v_fmac_f32_e32 v36, 0xbf5db3d7, v35
	v_fmac_f32_e32 v30, 0x3f5db3d7, v35
	v_add_f32_e32 v35, v31, v37
	v_add_f32_e32 v37, v37, v71
	v_mul_f32_e32 v72, v189, v39
	v_fmac_f32_e32 v31, -0.5, v37
	v_fmac_f32_e32 v72, v188, v38
	v_sub_f32_e32 v38, v69, v70
	v_mov_b32_e32 v37, v31
	v_add_f32_e32 v6, v6, v56
	v_add_f32_e32 v10, v10, v58
	;; [unrolled: 1-line block ×9, first 2 shown]
	v_fmac_f32_e32 v37, 0x3f5db3d7, v38
	v_fmac_f32_e32 v31, 0xbf5db3d7, v38
	s_barrier
	ds_write_b64 v88, v[8:9] offset:5832
	ds_write_b64 v88, v[0:1] offset:11664
	ds_write2_b64 v88, v[6:7], v[10:11] offset1:243
	ds_write_b64 v88, v[2:3] offset:13608
	ds_write_b64 v88, v[14:15] offset:3888
	ds_write2_b64 v117, v[12:13], v[20:21] offset0:12 offset1:255
	ds_write2_b64 v147, v[16:17], v[22:23] offset0:8 offset1:251
	;; [unrolled: 1-line block ×5, first 2 shown]
	ds_write2_b64 v118, v[28:29], v[30:31] offset1:243
	buffer_load_dword v0, off, s[24:27], 0 offset:696 ; 4-byte Folded Reload
	v_add_f32_e32 v39, v72, v74
	v_mul_f32_e32 v55, v199, v45
	v_add_f32_e32 v38, v40, v72
	v_fma_f32 v40, -0.5, v39, v40
	v_fmac_f32_e32 v55, v198, v44
	v_sub_f32_e32 v39, v73, v48
	v_mov_b32_e32 v44, v40
	v_add_f32_e32 v45, v73, v48
	v_fmac_f32_e32 v44, 0xbf5db3d7, v39
	v_fmac_f32_e32 v40, 0x3f5db3d7, v39
	v_add_f32_e32 v39, v41, v73
	v_fma_f32 v41, -0.5, v45, v41
	v_add_f32_e32 v38, v38, v74
	v_add_f32_e32 v39, v39, v48
	v_sub_f32_e32 v46, v72, v74
	v_mov_b32_e32 v45, v41
	v_fmac_f32_e32 v45, 0x3f5db3d7, v46
	v_fmac_f32_e32 v41, 0xbf5db3d7, v46
	s_waitcnt vmcnt(0)
	ds_write_b64 v0, v[38:39] offset:34992
	ds_write_b64 v0, v[44:45] offset:40824
	;; [unrolled: 1-line block ×3, first 2 shown]
	buffer_load_dword v0, off, s[24:27], 0 offset:700 ; 4-byte Folded Reload
	v_add_f32_e32 v47, v49, v53
	v_add_f32_e32 v46, v42, v49
	v_fma_f32 v42, -0.5, v47, v42
	v_sub_f32_e32 v47, v52, v50
	v_mov_b32_e32 v48, v42
	v_fmac_f32_e32 v48, 0xbf5db3d7, v47
	v_fmac_f32_e32 v42, 0x3f5db3d7, v47
	v_add_f32_e32 v47, v43, v52
	v_add_f32_e32 v47, v47, v50
	v_add_f32_e32 v50, v52, v50
	v_fmac_f32_e32 v43, -0.5, v50
	v_add_f32_e32 v46, v46, v53
	v_sub_f32_e32 v50, v49, v53
	v_mov_b32_e32 v49, v43
	v_fmac_f32_e32 v49, 0x3f5db3d7, v50
	v_fmac_f32_e32 v43, 0xbf5db3d7, v50
	s_waitcnt vmcnt(0)
	ds_write_b64 v0, v[46:47] offset:34992
	ds_write_b64 v0, v[48:49] offset:40824
	ds_write_b64 v0, v[42:43] offset:46656
	buffer_load_dword v0, off, s[24:27], 0 offset:704 ; 4-byte Folded Reload
	v_add_f32_e32 v51, v75, v55
	v_add_f32_e32 v50, v4, v75
	v_fma_f32 v4, -0.5, v51, v4
	v_sub_f32_e32 v51, v54, v76
	v_mov_b32_e32 v52, v4
	v_add_f32_e32 v53, v54, v76
	v_fmac_f32_e32 v52, 0xbf5db3d7, v51
	v_fmac_f32_e32 v4, 0x3f5db3d7, v51
	v_add_f32_e32 v51, v5, v54
	v_fmac_f32_e32 v5, -0.5, v53
	v_sub_f32_e32 v54, v75, v55
	v_mov_b32_e32 v53, v5
	v_add_f32_e32 v50, v50, v55
	v_add_f32_e32 v51, v51, v76
	v_fmac_f32_e32 v53, 0x3f5db3d7, v54
	v_fmac_f32_e32 v5, 0xbf5db3d7, v54
	s_waitcnt vmcnt(0)
	ds_write_b64 v0, v[50:51] offset:34992
	ds_write_b64 v0, v[52:53] offset:40824
	;; [unrolled: 1-line block ×3, first 2 shown]
	s_waitcnt lgkmcnt(0)
	s_barrier
	ds_read2_b64 v[0:3], v88 offset1:243
	ds_read2_b64 v[4:7], v147 offset0:8 offset1:251
	ds_read2_b64 v[8:11], v146 offset0:6 offset1:249
	;; [unrolled: 1-line block ×11, first 2 shown]
	ds_read2_b64 v[52:55], v118 offset1:243
	ds_read_b64 v[44:45], v88 offset:50544
	s_waitcnt lgkmcnt(12)
	v_mul_f32_e32 v46, v201, v7
	v_fmac_f32_e32 v46, v200, v6
	v_mul_f32_e32 v6, v201, v6
	v_fma_f32 v47, v200, v7, -v6
	s_waitcnt lgkmcnt(11)
	v_mul_f32_e32 v6, v203, v8
	v_mul_f32_e32 v56, v203, v9
	v_fma_f32 v9, v202, v9, -v6
	s_waitcnt lgkmcnt(10)
	v_mul_f32_e32 v6, v205, v12
	v_mul_f32_e32 v57, v205, v13
	v_fma_f32 v13, v204, v13, -v6
	v_mul_f32_e32 v6, v207, v10
	v_fma_f32 v59, v206, v11, -v6
	v_mul_f32_e32 v6, v209, v14
	v_fma_f32 v61, v208, v15, -v6
	s_waitcnt lgkmcnt(8)
	v_mul_f32_e32 v6, v211, v20
	v_mul_f32_e32 v62, v211, v21
	v_fma_f32 v21, v210, v21, -v6
	s_waitcnt lgkmcnt(7)
	v_mul_f32_e32 v6, v213, v24
	v_mul_f32_e32 v63, v213, v25
	v_fma_f32 v25, v212, v25, -v6
	v_mul_f32_e32 v6, v215, v22
	v_fma_f32 v65, v214, v23, -v6
	;; [unrolled: 12-line block ×3, first 2 shown]
	v_mul_f32_e32 v6, v225, v38
	v_fma_f32 v73, v224, v39, -v6
	s_waitcnt lgkmcnt(2)
	v_mul_f32_e32 v74, v227, v49
	v_mul_f32_e32 v6, v227, v48
	v_fmac_f32_e32 v74, v226, v48
	v_fma_f32 v48, v226, v49, -v6
	s_waitcnt lgkmcnt(1)
	v_mul_f32_e32 v49, v229, v53
	v_mul_f32_e32 v6, v229, v52
	v_fmac_f32_e32 v49, v228, v52
	v_fma_f32 v52, v228, v53, -v6
	v_mul_f32_e32 v53, v231, v51
	v_mul_f32_e32 v6, v231, v50
	v_fmac_f32_e32 v56, v202, v8
	v_fmac_f32_e32 v53, v230, v50
	v_fma_f32 v50, v230, v51, -v6
	v_mul_f32_e32 v75, v233, v55
	v_mul_f32_e32 v6, v233, v54
	v_fmac_f32_e32 v75, v232, v54
	v_fma_f32 v54, v232, v55, -v6
	s_waitcnt lgkmcnt(0)
	v_mul_f32_e32 v6, v235, v44
	v_add_f32_e32 v7, v46, v56
	v_fma_f32 v76, v234, v45, -v6
	v_add_f32_e32 v6, v0, v46
	v_fma_f32 v0, -0.5, v7, v0
	v_sub_f32_e32 v7, v47, v9
	v_mov_b32_e32 v8, v0
	v_fmac_f32_e32 v8, 0xbf5db3d7, v7
	v_fmac_f32_e32 v0, 0x3f5db3d7, v7
	v_add_f32_e32 v7, v1, v47
	v_mul_f32_e32 v58, v207, v11
	v_add_f32_e32 v7, v7, v9
	v_add_f32_e32 v9, v47, v9
	v_fmac_f32_e32 v57, v204, v12
	v_fmac_f32_e32 v58, v206, v10
	v_fma_f32 v1, -0.5, v9, v1
	v_sub_f32_e32 v10, v46, v56
	v_mov_b32_e32 v9, v1
	v_add_f32_e32 v11, v57, v58
	v_fmac_f32_e32 v9, 0x3f5db3d7, v10
	v_fmac_f32_e32 v1, 0xbf5db3d7, v10
	v_add_f32_e32 v10, v2, v57
	v_fma_f32 v2, -0.5, v11, v2
	v_sub_f32_e32 v11, v13, v59
	v_mov_b32_e32 v12, v2
	v_mul_f32_e32 v60, v209, v15
	v_fmac_f32_e32 v12, 0xbf5db3d7, v11
	v_fmac_f32_e32 v2, 0x3f5db3d7, v11
	v_add_f32_e32 v11, v3, v13
	v_add_f32_e32 v13, v13, v59
	v_fmac_f32_e32 v60, v208, v14
	v_fmac_f32_e32 v62, v210, v20
	v_fmac_f32_e32 v3, -0.5, v13
	v_sub_f32_e32 v14, v57, v58
	v_mov_b32_e32 v13, v3
	v_add_f32_e32 v15, v60, v62
	v_fmac_f32_e32 v13, 0x3f5db3d7, v14
	v_fmac_f32_e32 v3, 0xbf5db3d7, v14
	v_add_f32_e32 v14, v16, v60
	v_fma_f32 v16, -0.5, v15, v16
	v_sub_f32_e32 v15, v61, v21
	v_mov_b32_e32 v20, v16
	v_fmac_f32_e32 v20, 0xbf5db3d7, v15
	v_fmac_f32_e32 v16, 0x3f5db3d7, v15
	v_add_f32_e32 v15, v17, v61
	v_mul_f32_e32 v64, v215, v23
	v_add_f32_e32 v15, v15, v21
	v_add_f32_e32 v21, v61, v21
	v_fmac_f32_e32 v63, v212, v24
	v_fmac_f32_e32 v64, v214, v22
	v_fma_f32 v17, -0.5, v21, v17
	v_sub_f32_e32 v22, v60, v62
	v_mov_b32_e32 v21, v17
	v_add_f32_e32 v23, v63, v64
	v_fmac_f32_e32 v21, 0x3f5db3d7, v22
	v_fmac_f32_e32 v17, 0xbf5db3d7, v22
	v_add_f32_e32 v22, v18, v63
	v_fma_f32 v18, -0.5, v23, v18
	v_sub_f32_e32 v23, v25, v65
	v_mov_b32_e32 v24, v18
	v_mul_f32_e32 v66, v217, v27
	v_fmac_f32_e32 v24, 0xbf5db3d7, v23
	v_fmac_f32_e32 v18, 0x3f5db3d7, v23
	v_add_f32_e32 v23, v19, v25
	v_add_f32_e32 v25, v25, v65
	v_fmac_f32_e32 v66, v216, v26
	v_fmac_f32_e32 v68, v218, v32
	v_fmac_f32_e32 v19, -0.5, v25
	v_sub_f32_e32 v26, v63, v64
	v_mov_b32_e32 v25, v19
	v_add_f32_e32 v27, v66, v68
	v_fmac_f32_e32 v25, 0x3f5db3d7, v26
	v_fmac_f32_e32 v19, 0xbf5db3d7, v26
	v_add_f32_e32 v26, v28, v66
	v_fma_f32 v28, -0.5, v27, v28
	v_sub_f32_e32 v27, v67, v33
	v_mov_b32_e32 v32, v28
	v_fmac_f32_e32 v32, 0xbf5db3d7, v27
	v_fmac_f32_e32 v28, 0x3f5db3d7, v27
	v_add_f32_e32 v27, v29, v67
	v_mul_f32_e32 v70, v223, v35
	v_add_f32_e32 v27, v27, v33
	v_add_f32_e32 v33, v67, v33
	v_fmac_f32_e32 v69, v220, v36
	v_fmac_f32_e32 v70, v222, v34
	v_fma_f32 v29, -0.5, v33, v29
	v_sub_f32_e32 v34, v66, v68
	v_mov_b32_e32 v33, v29
	v_add_f32_e32 v35, v69, v70
	v_fmac_f32_e32 v33, 0x3f5db3d7, v34
	v_fmac_f32_e32 v29, 0xbf5db3d7, v34
	v_add_f32_e32 v34, v30, v69
	v_fma_f32 v30, -0.5, v35, v30
	v_sub_f32_e32 v35, v37, v71
	v_mov_b32_e32 v36, v30
	v_mul_f32_e32 v72, v225, v39
	v_fmac_f32_e32 v36, 0xbf5db3d7, v35
	v_fmac_f32_e32 v30, 0x3f5db3d7, v35
	v_add_f32_e32 v35, v31, v37
	v_add_f32_e32 v37, v37, v71
	v_fmac_f32_e32 v72, v224, v38
	v_fmac_f32_e32 v31, -0.5, v37
	v_sub_f32_e32 v38, v69, v70
	v_mov_b32_e32 v37, v31
	v_add_f32_e32 v39, v72, v74
	v_mul_f32_e32 v55, v235, v45
	v_fmac_f32_e32 v37, 0x3f5db3d7, v38
	v_fmac_f32_e32 v31, 0xbf5db3d7, v38
	v_add_f32_e32 v38, v40, v72
	v_fma_f32 v40, -0.5, v39, v40
	v_fmac_f32_e32 v55, v234, v44
	v_sub_f32_e32 v39, v73, v48
	v_mov_b32_e32 v44, v40
	v_add_f32_e32 v45, v73, v48
	v_fmac_f32_e32 v44, 0xbf5db3d7, v39
	v_fmac_f32_e32 v40, 0x3f5db3d7, v39
	v_add_f32_e32 v39, v41, v73
	v_fma_f32 v41, -0.5, v45, v41
	v_sub_f32_e32 v46, v72, v74
	v_mov_b32_e32 v45, v41
	v_add_f32_e32 v47, v49, v53
	v_fmac_f32_e32 v45, 0x3f5db3d7, v46
	v_fmac_f32_e32 v41, 0xbf5db3d7, v46
	v_add_f32_e32 v46, v42, v49
	v_fma_f32 v42, -0.5, v47, v42
	v_add_f32_e32 v39, v39, v48
	v_sub_f32_e32 v47, v52, v50
	v_mov_b32_e32 v48, v42
	v_fmac_f32_e32 v48, 0xbf5db3d7, v47
	v_fmac_f32_e32 v42, 0x3f5db3d7, v47
	v_add_f32_e32 v47, v43, v52
	v_add_f32_e32 v47, v47, v50
	;; [unrolled: 1-line block ×3, first 2 shown]
	v_fmac_f32_e32 v43, -0.5, v50
	v_sub_f32_e32 v50, v49, v53
	v_mov_b32_e32 v49, v43
	v_add_f32_e32 v51, v75, v55
	v_fmac_f32_e32 v49, 0x3f5db3d7, v50
	v_fmac_f32_e32 v43, 0xbf5db3d7, v50
	v_add_f32_e32 v50, v4, v75
	v_fma_f32 v4, -0.5, v51, v4
	v_add_f32_e32 v6, v6, v56
	v_add_f32_e32 v10, v10, v58
	;; [unrolled: 1-line block ×4, first 2 shown]
	v_sub_f32_e32 v51, v54, v76
	v_mov_b32_e32 v52, v4
	v_add_f32_e32 v53, v54, v76
	ds_write_b64 v88, v[8:9] offset:17496
	ds_write_b64 v88, v[0:1] offset:34992
	ds_write2_b64 v88, v[6:7], v[10:11] offset1:243
	ds_write2_b64 v145, v[12:13], v[20:21] offset0:6 offset1:249
	v_add_u32_e32 v0, 0x9000, v88
	v_add_f32_e32 v14, v14, v62
	v_add_f32_e32 v22, v22, v64
	;; [unrolled: 1-line block ×3, first 2 shown]
	v_fmac_f32_e32 v52, 0xbf5db3d7, v51
	v_fmac_f32_e32 v4, 0x3f5db3d7, v51
	v_add_f32_e32 v51, v5, v54
	v_fmac_f32_e32 v5, -0.5, v53
	ds_write2_b64 v0, v[2:3], v[16:17] offset0:9 offset1:252
	ds_write2_b64 v128, v[14:15], v[22:23] offset0:6 offset1:249
	;; [unrolled: 1-line block ×3, first 2 shown]
	v_add_u32_e32 v0, 0x9f40, v88
	v_add_f32_e32 v26, v26, v68
	v_add_f32_e32 v34, v34, v70
	;; [unrolled: 1-line block ×3, first 2 shown]
	v_sub_f32_e32 v54, v75, v55
	v_mov_b32_e32 v53, v5
	ds_write2_b64 v0, v[18:19], v[28:29] offset0:7 offset1:250
	ds_write2_b64 v117, v[26:27], v[34:35] offset0:12 offset1:255
	ds_write2_b64 v137, v[36:37], v[44:45] offset0:10 offset1:253
	v_add_u32_e32 v0, 0xae80, v88
	v_add_f32_e32 v38, v38, v74
	v_add_f32_e32 v50, v50, v55
	;; [unrolled: 1-line block ×3, first 2 shown]
	v_fmac_f32_e32 v53, 0x3f5db3d7, v54
	v_fmac_f32_e32 v5, 0xbf5db3d7, v54
	ds_write2_b64 v0, v[30:31], v[40:41] offset0:5 offset1:248
	ds_write2_b64 v136, v[38:39], v[46:47] offset0:2 offset1:245
	ds_write_b64 v88, v[50:51] offset:15552
	ds_write2_b64 v118, v[48:49], v[52:53] offset1:243
	v_add_u32_e32 v0, 0xbd80, v88
	ds_write2_b64 v0, v[42:43], v[4:5] offset0:11 offset1:254
	s_waitcnt lgkmcnt(0)
	s_barrier
	ds_read2_b64 v[2:5], v88 offset1:243
	buffer_load_dword v6, off, s[24:27], 0 offset:216 ; 4-byte Folded Reload
	buffer_load_dword v7, off, s[24:27], 0 offset:220 ; 4-byte Folded Reload
	v_mov_b32_e32 v8, s13
	s_waitcnt vmcnt(0) lgkmcnt(0)
	v_mul_f32_e32 v0, v7, v3
	v_fmac_f32_e32 v0, v6, v2
	v_cvt_f64_f32_e32 v[0:1], v0
	v_mul_f64 v[0:1], v[0:1], s[2:3]
	v_cvt_f32_f64_e32 v0, v[0:1]
	v_mul_f32_e32 v1, v7, v2
	v_fma_f32 v1, v6, v3, -v1
	buffer_load_dword v6, off, s[24:27], 0 offset:224 ; 4-byte Folded Reload
	v_cvt_f64_f32_e32 v[1:2], v1
	v_mul_f64 v[1:2], v[1:2], s[2:3]
	v_cvt_f32_f64_e32 v1, v[1:2]
	s_waitcnt vmcnt(0)
	v_mad_u64_u32 v[2:3], s[4:5], s0, v6, 0
	v_mad_u64_u32 v[6:7], s[4:5], s1, v6, v[3:4]
	s_mul_i32 s4, s1, 0x4458
	s_mul_hi_u32 s5, s0, 0x4458
	v_mov_b32_e32 v3, v6
	buffer_load_dword v6, off, s[24:27], 0 offset:176 ; 4-byte Folded Reload
	buffer_load_dword v7, off, s[24:27], 0 offset:180 ; 4-byte Folded Reload
	v_lshlrev_b64 v[2:3], 3, v[2:3]
	s_add_i32 s4, s5, s4
	s_mul_i32 s5, s0, 0x4458
	s_mul_i32 s1, s1, 0xffff7ee8
	s_add_i32 s1, s6, s1
	s_mul_i32 s0, s0, 0xffff7ee8
	s_waitcnt vmcnt(0)
	v_lshlrev_b64 v[6:7], 3, v[6:7]
	v_add_co_u32_e32 v6, vcc, s12, v6
	v_addc_co_u32_e32 v7, vcc, v8, v7, vcc
	v_add_co_u32_e32 v6, vcc, v6, v2
	v_addc_co_u32_e32 v7, vcc, v7, v3, vcc
	global_store_dwordx2 v[6:7], v[0:1], off
	ds_read2_b64 v[0:3], v147 offset0:8 offset1:251
	buffer_load_dword v9, off, s[24:27], 0 offset:200 ; 4-byte Folded Reload
	buffer_load_dword v10, off, s[24:27], 0 offset:204 ; 4-byte Folded Reload
	s_waitcnt vmcnt(0) lgkmcnt(0)
	v_mul_f32_e32 v8, v10, v3
	v_mov_b32_e32 v11, v10
	v_fmac_f32_e32 v8, v9, v2
	v_mov_b32_e32 v10, v9
	v_mul_f32_e32 v2, v11, v2
	v_fma_f32 v2, v10, v3, -v2
	v_cvt_f64_f32_e32 v[8:9], v8
	v_cvt_f64_f32_e32 v[2:3], v2
	v_mul_f64 v[8:9], v[8:9], s[2:3]
	v_mul_f64 v[2:3], v[2:3], s[2:3]
	v_cvt_f32_f64_e32 v8, v[8:9]
	v_cvt_f32_f64_e32 v9, v[2:3]
	v_add_co_u32_e32 v2, vcc, s5, v6
	v_mov_b32_e32 v3, s4
	v_addc_co_u32_e32 v3, vcc, v7, v3, vcc
	global_store_dwordx2 v[2:3], v[8:9], off
	ds_read2_b64 v[6:9], v146 offset0:6 offset1:249
	buffer_load_dword v11, off, s[24:27], 0 offset:192 ; 4-byte Folded Reload
	buffer_load_dword v12, off, s[24:27], 0 offset:196 ; 4-byte Folded Reload
	v_add_co_u32_e32 v2, vcc, s5, v2
	s_waitcnt vmcnt(0) lgkmcnt(0)
	v_mul_f32_e32 v10, v12, v7
	v_mov_b32_e32 v13, v12
	v_fmac_f32_e32 v10, v11, v6
	v_mov_b32_e32 v12, v11
	v_mul_f32_e32 v6, v13, v6
	v_fma_f32 v6, v12, v7, -v6
	v_cvt_f64_f32_e32 v[10:11], v10
	v_cvt_f64_f32_e32 v[6:7], v6
	v_mul_f64 v[10:11], v[10:11], s[2:3]
	v_mul_f64 v[6:7], v[6:7], s[2:3]
	v_cvt_f32_f64_e32 v10, v[10:11]
	v_cvt_f32_f64_e32 v11, v[6:7]
	v_mov_b32_e32 v6, s4
	v_addc_co_u32_e32 v3, vcc, v3, v6, vcc
	global_store_dwordx2 v[2:3], v[10:11], off
	buffer_load_dword v10, off, s[24:27], 0 offset:184 ; 4-byte Folded Reload
	s_nop 0
	buffer_load_dword v11, off, s[24:27], 0 offset:188 ; 4-byte Folded Reload
	s_waitcnt vmcnt(0)
	v_mul_f32_e32 v6, v11, v5
	v_fmac_f32_e32 v6, v10, v4
	v_mul_f32_e32 v4, v11, v4
	v_fma_f32 v4, v10, v5, -v4
	v_cvt_f64_f32_e32 v[6:7], v6
	v_cvt_f64_f32_e32 v[4:5], v4
	v_add_co_u32_e32 v10, vcc, s0, v2
	v_mul_f64 v[6:7], v[6:7], s[2:3]
	v_mul_f64 v[4:5], v[4:5], s[2:3]
	v_mov_b32_e32 v2, s1
	v_addc_co_u32_e32 v11, vcc, v3, v2, vcc
	v_cvt_f32_f64_e32 v6, v[6:7]
	v_cvt_f32_f64_e32 v7, v[4:5]
	ds_read2_b64 v[2:5], v145 offset0:6 offset1:249
	global_store_dwordx2 v[10:11], v[6:7], off
	buffer_load_dword v12, off, s[24:27], 0 offset:168 ; 4-byte Folded Reload
	buffer_load_dword v13, off, s[24:27], 0 offset:172 ; 4-byte Folded Reload
	s_waitcnt vmcnt(0) lgkmcnt(0)
	v_mul_f32_e32 v6, v13, v3
	v_fmac_f32_e32 v6, v12, v2
	v_mul_f32_e32 v2, v13, v2
	v_fma_f32 v2, v12, v3, -v2
	v_cvt_f64_f32_e32 v[6:7], v6
	v_cvt_f64_f32_e32 v[2:3], v2
	v_mul_f64 v[6:7], v[6:7], s[2:3]
	v_mul_f64 v[2:3], v[2:3], s[2:3]
	v_cvt_f32_f64_e32 v6, v[6:7]
	v_cvt_f32_f64_e32 v7, v[2:3]
	v_add_co_u32_e32 v2, vcc, s5, v10
	v_mov_b32_e32 v3, s4
	v_addc_co_u32_e32 v3, vcc, v11, v3, vcc
	global_store_dwordx2 v[2:3], v[6:7], off
	buffer_load_dword v10, off, s[24:27], 0 offset:160 ; 4-byte Folded Reload
	buffer_load_dword v11, off, s[24:27], 0 offset:164 ; 4-byte Folded Reload
	v_add_co_u32_e32 v2, vcc, s5, v2
	s_waitcnt vmcnt(0)
	v_mul_f32_e32 v6, v11, v9
	v_fmac_f32_e32 v6, v10, v8
	v_cvt_f64_f32_e32 v[6:7], v6
	v_mul_f64 v[6:7], v[6:7], s[2:3]
	v_cvt_f32_f64_e32 v6, v[6:7]
	v_mul_f32_e32 v7, v11, v8
	v_fma_f32 v7, v10, v9, -v7
	v_cvt_f64_f32_e32 v[7:8], v7
	v_mul_f64 v[7:8], v[7:8], s[2:3]
	v_cvt_f32_f64_e32 v7, v[7:8]
	v_mov_b32_e32 v8, s4
	v_addc_co_u32_e32 v3, vcc, v3, v8, vcc
	global_store_dwordx2 v[2:3], v[6:7], off
	ds_read2_b64 v[6:9], v128 offset0:6 offset1:249
	buffer_load_dword v11, off, s[24:27], 0 offset:152 ; 4-byte Folded Reload
	buffer_load_dword v12, off, s[24:27], 0 offset:156 ; 4-byte Folded Reload
	v_add_co_u32_e32 v2, vcc, s0, v2
	s_waitcnt vmcnt(0) lgkmcnt(0)
	v_mul_f32_e32 v10, v12, v7
	v_mov_b32_e32 v13, v12
	v_fmac_f32_e32 v10, v11, v6
	v_mov_b32_e32 v12, v11
	v_mul_f32_e32 v6, v13, v6
	v_fma_f32 v6, v12, v7, -v6
	v_cvt_f64_f32_e32 v[10:11], v10
	v_cvt_f64_f32_e32 v[6:7], v6
	v_mul_f64 v[10:11], v[10:11], s[2:3]
	v_mul_f64 v[6:7], v[6:7], s[2:3]
	v_cvt_f32_f64_e32 v10, v[10:11]
	v_cvt_f32_f64_e32 v11, v[6:7]
	v_mov_b32_e32 v6, s1
	v_addc_co_u32_e32 v3, vcc, v3, v6, vcc
	global_store_dwordx2 v[2:3], v[10:11], off
	buffer_load_dword v10, off, s[24:27], 0 offset:144 ; 4-byte Folded Reload
	s_nop 0
	buffer_load_dword v11, off, s[24:27], 0 offset:148 ; 4-byte Folded Reload
	s_waitcnt vmcnt(0)
	v_mul_f32_e32 v6, v11, v5
	v_fmac_f32_e32 v6, v10, v4
	v_mul_f32_e32 v4, v11, v4
	v_fma_f32 v4, v10, v5, -v4
	v_cvt_f64_f32_e32 v[6:7], v6
	v_cvt_f64_f32_e32 v[4:5], v4
	v_add_co_u32_e32 v10, vcc, s5, v2
	v_mul_f64 v[6:7], v[6:7], s[2:3]
	v_mul_f64 v[4:5], v[4:5], s[2:3]
	v_mov_b32_e32 v2, s4
	v_addc_co_u32_e32 v11, vcc, v3, v2, vcc
	v_cvt_f32_f64_e32 v6, v[6:7]
	v_cvt_f32_f64_e32 v7, v[4:5]
	ds_read2_b64 v[2:5], v139 offset0:12 offset1:255
	global_store_dwordx2 v[10:11], v[6:7], off
	buffer_load_dword v12, off, s[24:27], 0 offset:128 ; 4-byte Folded Reload
	buffer_load_dword v13, off, s[24:27], 0 offset:132 ; 4-byte Folded Reload
	s_waitcnt vmcnt(0) lgkmcnt(0)
	v_mul_f32_e32 v6, v13, v3
	v_fmac_f32_e32 v6, v12, v2
	v_mul_f32_e32 v2, v13, v2
	v_fma_f32 v2, v12, v3, -v2
	v_cvt_f64_f32_e32 v[6:7], v6
	v_cvt_f64_f32_e32 v[2:3], v2
	v_mul_f64 v[6:7], v[6:7], s[2:3]
	v_mul_f64 v[2:3], v[2:3], s[2:3]
	v_cvt_f32_f64_e32 v6, v[6:7]
	v_cvt_f32_f64_e32 v7, v[2:3]
	v_add_co_u32_e32 v2, vcc, s5, v10
	v_mov_b32_e32 v3, s4
	v_addc_co_u32_e32 v3, vcc, v11, v3, vcc
	global_store_dwordx2 v[2:3], v[6:7], off
	buffer_load_dword v10, off, s[24:27], 0 offset:120 ; 4-byte Folded Reload
	buffer_load_dword v11, off, s[24:27], 0 offset:124 ; 4-byte Folded Reload
	v_add_co_u32_e32 v2, vcc, s0, v2
	s_waitcnt vmcnt(0)
	v_mul_f32_e32 v6, v11, v9
	v_fmac_f32_e32 v6, v10, v8
	v_cvt_f64_f32_e32 v[6:7], v6
	v_mul_f64 v[6:7], v[6:7], s[2:3]
	v_cvt_f32_f64_e32 v6, v[6:7]
	v_mul_f32_e32 v7, v11, v8
	v_fma_f32 v7, v10, v9, -v7
	v_cvt_f64_f32_e32 v[7:8], v7
	v_mul_f64 v[7:8], v[7:8], s[2:3]
	v_cvt_f32_f64_e32 v7, v[7:8]
	v_mov_b32_e32 v8, s1
	v_addc_co_u32_e32 v3, vcc, v3, v8, vcc
	global_store_dwordx2 v[2:3], v[6:7], off
	ds_read2_b64 v[6:9], v126 offset0:4 offset1:247
	buffer_load_dword v11, off, s[24:27], 0 offset:112 ; 4-byte Folded Reload
	buffer_load_dword v12, off, s[24:27], 0 offset:116 ; 4-byte Folded Reload
	v_add_co_u32_e32 v2, vcc, s5, v2
	s_waitcnt vmcnt(0) lgkmcnt(0)
	v_mul_f32_e32 v10, v12, v7
	v_mov_b32_e32 v13, v12
	v_fmac_f32_e32 v10, v11, v6
	v_mov_b32_e32 v12, v11
	v_mul_f32_e32 v6, v13, v6
	v_fma_f32 v6, v12, v7, -v6
	v_cvt_f64_f32_e32 v[10:11], v10
	v_cvt_f64_f32_e32 v[6:7], v6
	v_mul_f64 v[10:11], v[10:11], s[2:3]
	v_mul_f64 v[6:7], v[6:7], s[2:3]
	v_cvt_f32_f64_e32 v10, v[10:11]
	v_cvt_f32_f64_e32 v11, v[6:7]
	v_mov_b32_e32 v6, s4
	v_addc_co_u32_e32 v3, vcc, v3, v6, vcc
	global_store_dwordx2 v[2:3], v[10:11], off
	buffer_load_dword v10, off, s[24:27], 0 offset:96 ; 4-byte Folded Reload
	s_nop 0
	buffer_load_dword v11, off, s[24:27], 0 offset:100 ; 4-byte Folded Reload
	s_waitcnt vmcnt(0)
	v_mul_f32_e32 v6, v11, v5
	v_fmac_f32_e32 v6, v10, v4
	v_mul_f32_e32 v4, v11, v4
	v_fma_f32 v4, v10, v5, -v4
	v_cvt_f64_f32_e32 v[6:7], v6
	v_cvt_f64_f32_e32 v[4:5], v4
	v_add_co_u32_e32 v10, vcc, s5, v2
	v_mul_f64 v[6:7], v[6:7], s[2:3]
	v_mul_f64 v[4:5], v[4:5], s[2:3]
	v_mov_b32_e32 v2, s4
	v_addc_co_u32_e32 v11, vcc, v3, v2, vcc
	v_cvt_f32_f64_e32 v6, v[6:7]
	v_cvt_f32_f64_e32 v7, v[4:5]
	ds_read2_b64 v[2:5], v117 offset0:12 offset1:255
	global_store_dwordx2 v[10:11], v[6:7], off
	buffer_load_dword v12, off, s[24:27], 0 offset:136 ; 4-byte Folded Reload
	buffer_load_dword v13, off, s[24:27], 0 offset:140 ; 4-byte Folded Reload
	s_waitcnt vmcnt(0) lgkmcnt(0)
	v_mul_f32_e32 v6, v13, v3
	v_fmac_f32_e32 v6, v12, v2
	v_mul_f32_e32 v2, v13, v2
	v_fma_f32 v2, v12, v3, -v2
	v_cvt_f64_f32_e32 v[6:7], v6
	v_cvt_f64_f32_e32 v[2:3], v2
	v_mul_f64 v[6:7], v[6:7], s[2:3]
	v_mul_f64 v[2:3], v[2:3], s[2:3]
	v_cvt_f32_f64_e32 v6, v[6:7]
	v_cvt_f32_f64_e32 v7, v[2:3]
	v_add_co_u32_e32 v2, vcc, s0, v10
	v_mov_b32_e32 v3, s1
	v_addc_co_u32_e32 v3, vcc, v11, v3, vcc
	global_store_dwordx2 v[2:3], v[6:7], off
	buffer_load_dword v10, off, s[24:27], 0 offset:104 ; 4-byte Folded Reload
	buffer_load_dword v11, off, s[24:27], 0 offset:108 ; 4-byte Folded Reload
	v_add_co_u32_e32 v2, vcc, s5, v2
	s_waitcnt vmcnt(0)
	v_mul_f32_e32 v6, v11, v9
	v_fmac_f32_e32 v6, v10, v8
	v_cvt_f64_f32_e32 v[6:7], v6
	v_mul_f64 v[6:7], v[6:7], s[2:3]
	v_cvt_f32_f64_e32 v6, v[6:7]
	v_mul_f32_e32 v7, v11, v8
	v_fma_f32 v7, v10, v9, -v7
	v_cvt_f64_f32_e32 v[7:8], v7
	v_mul_f64 v[7:8], v[7:8], s[2:3]
	v_cvt_f32_f64_e32 v7, v[7:8]
	v_mov_b32_e32 v8, s4
	v_addc_co_u32_e32 v3, vcc, v3, v8, vcc
	global_store_dwordx2 v[2:3], v[6:7], off
	ds_read2_b64 v[6:9], v132 offset0:2 offset1:245
	buffer_load_dword v11, off, s[24:27], 0 offset:88 ; 4-byte Folded Reload
	buffer_load_dword v12, off, s[24:27], 0 offset:92 ; 4-byte Folded Reload
	v_add_co_u32_e32 v2, vcc, s5, v2
	s_waitcnt vmcnt(0) lgkmcnt(0)
	v_mul_f32_e32 v10, v12, v7
	v_mov_b32_e32 v13, v12
	v_fmac_f32_e32 v10, v11, v6
	v_mov_b32_e32 v12, v11
	v_mul_f32_e32 v6, v13, v6
	v_fma_f32 v6, v12, v7, -v6
	v_cvt_f64_f32_e32 v[10:11], v10
	v_cvt_f64_f32_e32 v[6:7], v6
	v_mul_f64 v[10:11], v[10:11], s[2:3]
	v_mul_f64 v[6:7], v[6:7], s[2:3]
	v_cvt_f32_f64_e32 v10, v[10:11]
	v_cvt_f32_f64_e32 v11, v[6:7]
	v_mov_b32_e32 v6, s4
	v_addc_co_u32_e32 v3, vcc, v3, v6, vcc
	global_store_dwordx2 v[2:3], v[10:11], off
	buffer_load_dword v10, off, s[24:27], 0 offset:80 ; 4-byte Folded Reload
	s_nop 0
	buffer_load_dword v11, off, s[24:27], 0 offset:84 ; 4-byte Folded Reload
	s_waitcnt vmcnt(0)
	v_mul_f32_e32 v6, v11, v5
	v_fmac_f32_e32 v6, v10, v4
	v_mul_f32_e32 v4, v11, v4
	v_fma_f32 v4, v10, v5, -v4
	v_cvt_f64_f32_e32 v[6:7], v6
	v_cvt_f64_f32_e32 v[4:5], v4
	v_add_co_u32_e32 v10, vcc, s0, v2
	v_mul_f64 v[6:7], v[6:7], s[2:3]
	v_mul_f64 v[4:5], v[4:5], s[2:3]
	v_mov_b32_e32 v2, s1
	v_addc_co_u32_e32 v11, vcc, v3, v2, vcc
	v_cvt_f32_f64_e32 v6, v[6:7]
	v_cvt_f32_f64_e32 v7, v[4:5]
	ds_read2_b64 v[2:5], v137 offset0:10 offset1:253
	global_store_dwordx2 v[10:11], v[6:7], off
	buffer_load_dword v12, off, s[24:27], 0 offset:72 ; 4-byte Folded Reload
	buffer_load_dword v13, off, s[24:27], 0 offset:76 ; 4-byte Folded Reload
	s_waitcnt vmcnt(0) lgkmcnt(0)
	v_mul_f32_e32 v6, v13, v3
	v_fmac_f32_e32 v6, v12, v2
	v_mul_f32_e32 v2, v13, v2
	v_fma_f32 v2, v12, v3, -v2
	v_cvt_f64_f32_e32 v[6:7], v6
	v_cvt_f64_f32_e32 v[2:3], v2
	v_mul_f64 v[6:7], v[6:7], s[2:3]
	v_mul_f64 v[2:3], v[2:3], s[2:3]
	v_cvt_f32_f64_e32 v6, v[6:7]
	v_cvt_f32_f64_e32 v7, v[2:3]
	v_add_co_u32_e32 v2, vcc, s5, v10
	v_mov_b32_e32 v3, s4
	v_addc_co_u32_e32 v3, vcc, v11, v3, vcc
	global_store_dwordx2 v[2:3], v[6:7], off
	buffer_load_dword v10, off, s[24:27], 0 offset:56 ; 4-byte Folded Reload
	buffer_load_dword v11, off, s[24:27], 0 offset:60 ; 4-byte Folded Reload
	v_add_co_u32_e32 v2, vcc, s5, v2
	s_waitcnt vmcnt(0)
	v_mul_f32_e32 v6, v11, v9
	v_fmac_f32_e32 v6, v10, v8
	v_cvt_f64_f32_e32 v[6:7], v6
	v_mul_f64 v[6:7], v[6:7], s[2:3]
	v_cvt_f32_f64_e32 v6, v[6:7]
	v_mul_f32_e32 v7, v11, v8
	v_fma_f32 v7, v10, v9, -v7
	v_cvt_f64_f32_e32 v[7:8], v7
	v_mul_f64 v[7:8], v[7:8], s[2:3]
	v_cvt_f32_f64_e32 v7, v[7:8]
	v_mov_b32_e32 v8, s4
	v_addc_co_u32_e32 v3, vcc, v3, v8, vcc
	global_store_dwordx2 v[2:3], v[6:7], off
	ds_read2_b64 v[6:9], v136 offset0:2 offset1:245
	buffer_load_dword v11, off, s[24:27], 0 offset:48 ; 4-byte Folded Reload
	buffer_load_dword v12, off, s[24:27], 0 offset:52 ; 4-byte Folded Reload
	v_add_co_u32_e32 v2, vcc, s0, v2
	s_waitcnt vmcnt(0) lgkmcnt(0)
	v_mul_f32_e32 v10, v12, v7
	v_mov_b32_e32 v13, v12
	v_fmac_f32_e32 v10, v11, v6
	v_mov_b32_e32 v12, v11
	v_mul_f32_e32 v6, v13, v6
	v_fma_f32 v6, v12, v7, -v6
	v_cvt_f64_f32_e32 v[10:11], v10
	v_cvt_f64_f32_e32 v[6:7], v6
	v_mul_f64 v[10:11], v[10:11], s[2:3]
	v_mul_f64 v[6:7], v[6:7], s[2:3]
	v_cvt_f32_f64_e32 v10, v[10:11]
	v_cvt_f32_f64_e32 v11, v[6:7]
	v_mov_b32_e32 v6, s1
	v_addc_co_u32_e32 v3, vcc, v3, v6, vcc
	global_store_dwordx2 v[2:3], v[10:11], off
	buffer_load_dword v10, off, s[24:27], 0 offset:40 ; 4-byte Folded Reload
	s_nop 0
	buffer_load_dword v11, off, s[24:27], 0 offset:44 ; 4-byte Folded Reload
	s_waitcnt vmcnt(0)
	v_mul_f32_e32 v6, v11, v5
	v_fmac_f32_e32 v6, v10, v4
	v_mul_f32_e32 v4, v11, v4
	v_fma_f32 v4, v10, v5, -v4
	v_cvt_f64_f32_e32 v[6:7], v6
	v_cvt_f64_f32_e32 v[4:5], v4
	v_add_co_u32_e32 v10, vcc, s5, v2
	v_mul_f64 v[6:7], v[6:7], s[2:3]
	v_mul_f64 v[4:5], v[4:5], s[2:3]
	v_mov_b32_e32 v2, s4
	v_addc_co_u32_e32 v11, vcc, v3, v2, vcc
	v_cvt_f32_f64_e32 v6, v[6:7]
	v_cvt_f32_f64_e32 v7, v[4:5]
	ds_read2_b64 v[2:5], v135 offset0:8 offset1:251
	global_store_dwordx2 v[10:11], v[6:7], off
	buffer_load_dword v12, off, s[24:27], 0 offset:32 ; 4-byte Folded Reload
	buffer_load_dword v13, off, s[24:27], 0 offset:36 ; 4-byte Folded Reload
	s_waitcnt vmcnt(0) lgkmcnt(0)
	v_mul_f32_e32 v6, v13, v3
	v_fmac_f32_e32 v6, v12, v2
	v_mul_f32_e32 v2, v13, v2
	v_fma_f32 v2, v12, v3, -v2
	v_cvt_f64_f32_e32 v[6:7], v6
	v_cvt_f64_f32_e32 v[2:3], v2
	v_mul_f64 v[6:7], v[6:7], s[2:3]
	v_mul_f64 v[2:3], v[2:3], s[2:3]
	v_cvt_f32_f64_e32 v6, v[6:7]
	v_cvt_f32_f64_e32 v7, v[2:3]
	v_add_co_u32_e32 v2, vcc, s5, v10
	v_mov_b32_e32 v3, s4
	v_addc_co_u32_e32 v3, vcc, v11, v3, vcc
	global_store_dwordx2 v[2:3], v[6:7], off
	buffer_load_dword v10, off, s[24:27], 0 offset:24 ; 4-byte Folded Reload
	buffer_load_dword v11, off, s[24:27], 0 offset:28 ; 4-byte Folded Reload
	v_add_co_u32_e32 v2, vcc, s0, v2
	s_waitcnt vmcnt(0)
	v_mul_f32_e32 v6, v11, v9
	v_fmac_f32_e32 v6, v10, v8
	v_cvt_f64_f32_e32 v[6:7], v6
	v_mul_f64 v[6:7], v[6:7], s[2:3]
	v_cvt_f32_f64_e32 v6, v[6:7]
	v_mul_f32_e32 v7, v11, v8
	v_fma_f32 v7, v10, v9, -v7
	v_cvt_f64_f32_e32 v[7:8], v7
	v_mul_f64 v[7:8], v[7:8], s[2:3]
	v_cvt_f32_f64_e32 v7, v[7:8]
	v_mov_b32_e32 v8, s1
	v_addc_co_u32_e32 v3, vcc, v3, v8, vcc
	global_store_dwordx2 v[2:3], v[6:7], off
	ds_read2_b64 v[6:9], v118 offset1:243
	buffer_load_dword v11, off, s[24:27], 0 offset:16 ; 4-byte Folded Reload
	buffer_load_dword v12, off, s[24:27], 0 offset:20 ; 4-byte Folded Reload
	v_add_co_u32_e32 v2, vcc, s5, v2
	s_waitcnt vmcnt(0) lgkmcnt(0)
	v_mul_f32_e32 v10, v12, v7
	v_mov_b32_e32 v13, v12
	v_fmac_f32_e32 v10, v11, v6
	v_mov_b32_e32 v12, v11
	v_mul_f32_e32 v6, v13, v6
	v_fma_f32 v6, v12, v7, -v6
	v_cvt_f64_f32_e32 v[10:11], v10
	v_cvt_f64_f32_e32 v[6:7], v6
	v_mul_f64 v[10:11], v[10:11], s[2:3]
	v_mul_f64 v[6:7], v[6:7], s[2:3]
	v_cvt_f32_f64_e32 v10, v[10:11]
	v_cvt_f32_f64_e32 v11, v[6:7]
	v_mov_b32_e32 v6, s4
	v_addc_co_u32_e32 v3, vcc, v3, v6, vcc
	global_store_dwordx2 v[2:3], v[10:11], off
	buffer_load_dword v10, off, s[24:27], 0 offset:8 ; 4-byte Folded Reload
	s_nop 0
	buffer_load_dword v11, off, s[24:27], 0 offset:12 ; 4-byte Folded Reload
	v_add_co_u32_e32 v2, vcc, s5, v2
	s_waitcnt vmcnt(0)
	v_mul_f32_e32 v6, v11, v5
	v_fmac_f32_e32 v6, v10, v4
	v_mul_f32_e32 v4, v11, v4
	v_fma_f32 v4, v10, v5, -v4
	v_cvt_f64_f32_e32 v[6:7], v6
	v_cvt_f64_f32_e32 v[4:5], v4
	v_mul_f64 v[6:7], v[6:7], s[2:3]
	v_mul_f64 v[4:5], v[4:5], s[2:3]
	v_cvt_f32_f64_e32 v6, v[6:7]
	v_cvt_f32_f64_e32 v7, v[4:5]
	v_mov_b32_e32 v4, s4
	v_addc_co_u32_e32 v3, vcc, v3, v4, vcc
	global_store_dwordx2 v[2:3], v[6:7], off
	buffer_load_dword v5, off, s[24:27], 0  ; 4-byte Folded Reload
	s_nop 0
	buffer_load_dword v6, off, s[24:27], 0 offset:4 ; 4-byte Folded Reload
	s_waitcnt vmcnt(0)
	v_mul_f32_e32 v4, v6, v1
	v_mov_b32_e32 v7, v6
	v_fmac_f32_e32 v4, v5, v0
	v_mov_b32_e32 v6, v5
	v_mul_f32_e32 v0, v7, v0
	v_fma_f32 v0, v6, v1, -v0
	v_cvt_f64_f32_e32 v[4:5], v4
	v_cvt_f64_f32_e32 v[0:1], v0
	v_mul_f64 v[4:5], v[4:5], s[2:3]
	v_mul_f64 v[0:1], v[0:1], s[2:3]
	v_cvt_f32_f64_e32 v4, v[4:5]
	v_cvt_f32_f64_e32 v5, v[0:1]
	v_add_co_u32_e32 v0, vcc, s0, v2
	v_mov_b32_e32 v1, s1
	v_addc_co_u32_e32 v1, vcc, v3, v1, vcc
	global_store_dwordx2 v[0:1], v[4:5], off
	buffer_load_dword v3, off, s[24:27], 0 offset:64 ; 4-byte Folded Reload
	s_nop 0
	buffer_load_dword v4, off, s[24:27], 0 offset:68 ; 4-byte Folded Reload
	v_add_co_u32_e32 v0, vcc, s5, v0
	s_waitcnt vmcnt(0)
	v_mul_f32_e32 v2, v4, v9
	v_fmac_f32_e32 v2, v3, v8
	v_mov_b32_e32 v5, v4
	v_mov_b32_e32 v4, v3
	v_cvt_f64_f32_e32 v[2:3], v2
	v_mul_f64 v[2:3], v[2:3], s[2:3]
	v_cvt_f32_f64_e32 v2, v[2:3]
	v_mul_f32_e32 v3, v5, v8
	v_fma_f32 v3, v4, v9, -v3
	v_cvt_f64_f32_e32 v[3:4], v3
	v_mul_f64 v[3:4], v[3:4], s[2:3]
	v_cvt_f32_f64_e32 v3, v[3:4]
	v_mov_b32_e32 v4, s4
	v_addc_co_u32_e32 v1, vcc, v1, v4, vcc
	global_store_dwordx2 v[0:1], v[2:3], off
	ds_read_b64 v[2:3], v88 offset:50544
	buffer_load_dword v5, off, s[24:27], 0 offset:208 ; 4-byte Folded Reload
	buffer_load_dword v6, off, s[24:27], 0 offset:212 ; 4-byte Folded Reload
	v_add_co_u32_e32 v0, vcc, s5, v0
	s_waitcnt vmcnt(0) lgkmcnt(0)
	v_mul_f32_e32 v4, v6, v3
	v_mov_b32_e32 v7, v6
	v_fmac_f32_e32 v4, v5, v2
	v_mov_b32_e32 v6, v5
	v_mul_f32_e32 v2, v7, v2
	v_fma_f32 v2, v6, v3, -v2
	v_cvt_f64_f32_e32 v[4:5], v4
	v_cvt_f64_f32_e32 v[2:3], v2
	v_mul_f64 v[4:5], v[4:5], s[2:3]
	v_mul_f64 v[2:3], v[2:3], s[2:3]
	v_cvt_f32_f64_e32 v4, v[4:5]
	v_cvt_f32_f64_e32 v5, v[2:3]
	v_mov_b32_e32 v2, s4
	v_addc_co_u32_e32 v1, vcc, v1, v2, vcc
	global_store_dwordx2 v[0:1], v[4:5], off
.LBB0_2:
	s_endpgm
	.section	.rodata,"a",@progbits
	.p2align	6, 0x0
	.amdhsa_kernel bluestein_single_back_len6561_dim1_sp_op_CI_CI
		.amdhsa_group_segment_fixed_size 52488
		.amdhsa_private_segment_fixed_size 744
		.amdhsa_kernarg_size 104
		.amdhsa_user_sgpr_count 6
		.amdhsa_user_sgpr_private_segment_buffer 1
		.amdhsa_user_sgpr_dispatch_ptr 0
		.amdhsa_user_sgpr_queue_ptr 0
		.amdhsa_user_sgpr_kernarg_segment_ptr 1
		.amdhsa_user_sgpr_dispatch_id 0
		.amdhsa_user_sgpr_flat_scratch_init 0
		.amdhsa_user_sgpr_private_segment_size 0
		.amdhsa_uses_dynamic_stack 0
		.amdhsa_system_sgpr_private_segment_wavefront_offset 1
		.amdhsa_system_sgpr_workgroup_id_x 1
		.amdhsa_system_sgpr_workgroup_id_y 0
		.amdhsa_system_sgpr_workgroup_id_z 0
		.amdhsa_system_sgpr_workgroup_info 0
		.amdhsa_system_vgpr_workitem_id 0
		.amdhsa_next_free_vgpr 256
		.amdhsa_next_free_sgpr 28
		.amdhsa_reserve_vcc 1
		.amdhsa_reserve_flat_scratch 0
		.amdhsa_float_round_mode_32 0
		.amdhsa_float_round_mode_16_64 0
		.amdhsa_float_denorm_mode_32 3
		.amdhsa_float_denorm_mode_16_64 3
		.amdhsa_dx10_clamp 1
		.amdhsa_ieee_mode 1
		.amdhsa_fp16_overflow 0
		.amdhsa_exception_fp_ieee_invalid_op 0
		.amdhsa_exception_fp_denorm_src 0
		.amdhsa_exception_fp_ieee_div_zero 0
		.amdhsa_exception_fp_ieee_overflow 0
		.amdhsa_exception_fp_ieee_underflow 0
		.amdhsa_exception_fp_ieee_inexact 0
		.amdhsa_exception_int_div_zero 0
	.end_amdhsa_kernel
	.text
.Lfunc_end0:
	.size	bluestein_single_back_len6561_dim1_sp_op_CI_CI, .Lfunc_end0-bluestein_single_back_len6561_dim1_sp_op_CI_CI
                                        ; -- End function
	.section	.AMDGPU.csdata,"",@progbits
; Kernel info:
; codeLenInByte = 35504
; NumSgprs: 32
; NumVgprs: 256
; ScratchSize: 744
; MemoryBound: 0
; FloatMode: 240
; IeeeMode: 1
; LDSByteSize: 52488 bytes/workgroup (compile time only)
; SGPRBlocks: 3
; VGPRBlocks: 63
; NumSGPRsForWavesPerEU: 32
; NumVGPRsForWavesPerEU: 256
; Occupancy: 1
; WaveLimiterHint : 1
; COMPUTE_PGM_RSRC2:SCRATCH_EN: 1
; COMPUTE_PGM_RSRC2:USER_SGPR: 6
; COMPUTE_PGM_RSRC2:TRAP_HANDLER: 0
; COMPUTE_PGM_RSRC2:TGID_X_EN: 1
; COMPUTE_PGM_RSRC2:TGID_Y_EN: 0
; COMPUTE_PGM_RSRC2:TGID_Z_EN: 0
; COMPUTE_PGM_RSRC2:TIDIG_COMP_CNT: 0
	.type	__hip_cuid_ac820934c50ad357,@object ; @__hip_cuid_ac820934c50ad357
	.section	.bss,"aw",@nobits
	.globl	__hip_cuid_ac820934c50ad357
__hip_cuid_ac820934c50ad357:
	.byte	0                               ; 0x0
	.size	__hip_cuid_ac820934c50ad357, 1

	.ident	"AMD clang version 19.0.0git (https://github.com/RadeonOpenCompute/llvm-project roc-6.4.0 25133 c7fe45cf4b819c5991fe208aaa96edf142730f1d)"
	.section	".note.GNU-stack","",@progbits
	.addrsig
	.addrsig_sym __hip_cuid_ac820934c50ad357
	.amdgpu_metadata
---
amdhsa.kernels:
  - .args:
      - .actual_access:  read_only
        .address_space:  global
        .offset:         0
        .size:           8
        .value_kind:     global_buffer
      - .actual_access:  read_only
        .address_space:  global
        .offset:         8
        .size:           8
        .value_kind:     global_buffer
      - .actual_access:  read_only
        .address_space:  global
        .offset:         16
        .size:           8
        .value_kind:     global_buffer
      - .actual_access:  read_only
        .address_space:  global
        .offset:         24
        .size:           8
        .value_kind:     global_buffer
      - .actual_access:  read_only
        .address_space:  global
        .offset:         32
        .size:           8
        .value_kind:     global_buffer
      - .offset:         40
        .size:           8
        .value_kind:     by_value
      - .address_space:  global
        .offset:         48
        .size:           8
        .value_kind:     global_buffer
      - .address_space:  global
        .offset:         56
        .size:           8
        .value_kind:     global_buffer
      - .address_space:  global
        .offset:         64
        .size:           8
        .value_kind:     global_buffer
      - .address_space:  global
        .offset:         72
        .size:           8
        .value_kind:     global_buffer
      - .offset:         80
        .size:           4
        .value_kind:     by_value
      - .address_space:  global
        .offset:         88
        .size:           8
        .value_kind:     global_buffer
      - .address_space:  global
        .offset:         96
        .size:           8
        .value_kind:     global_buffer
    .group_segment_fixed_size: 52488
    .kernarg_segment_align: 8
    .kernarg_segment_size: 104
    .language:       OpenCL C
    .language_version:
      - 2
      - 0
    .max_flat_workgroup_size: 243
    .name:           bluestein_single_back_len6561_dim1_sp_op_CI_CI
    .private_segment_fixed_size: 744
    .sgpr_count:     32
    .sgpr_spill_count: 0
    .symbol:         bluestein_single_back_len6561_dim1_sp_op_CI_CI.kd
    .uniform_work_group_size: 1
    .uses_dynamic_stack: false
    .vgpr_count:     256
    .vgpr_spill_count: 185
    .wavefront_size: 64
amdhsa.target:   amdgcn-amd-amdhsa--gfx906
amdhsa.version:
  - 1
  - 2
...

	.end_amdgpu_metadata
